;; amdgpu-corpus repo=ROCm/composable_kernel kind=compiled arch=gfx1201 opt=O3
	.amdgcn_target "amdgcn-amd-amdhsa--gfx1201"
	.amdhsa_code_object_version 6
	.section	.text._ZN2ckL12flush_icacheEv,"axG",@progbits,_ZN2ckL12flush_icacheEv,comdat
	.globl	_ZN2ckL12flush_icacheEv         ; -- Begin function _ZN2ckL12flush_icacheEv
	.p2align	8
	.type	_ZN2ckL12flush_icacheEv,@function
_ZN2ckL12flush_icacheEv:                ; @_ZN2ckL12flush_icacheEv
; %bb.0:
	;;#ASMSTART
	s_icache_inv 
	s_nop 0 
	s_nop 0 
	;; [unrolled: 1-line block ×16, first 2 shown]
	
	;;#ASMEND
	s_endpgm
	.section	.rodata,"a",@progbits
	.p2align	6, 0x0
	.amdhsa_kernel _ZN2ckL12flush_icacheEv
		.amdhsa_group_segment_fixed_size 0
		.amdhsa_private_segment_fixed_size 0
		.amdhsa_kernarg_size 0
		.amdhsa_user_sgpr_count 0
		.amdhsa_user_sgpr_dispatch_ptr 0
		.amdhsa_user_sgpr_queue_ptr 0
		.amdhsa_user_sgpr_kernarg_segment_ptr 0
		.amdhsa_user_sgpr_dispatch_id 0
		.amdhsa_user_sgpr_private_segment_size 0
		.amdhsa_wavefront_size32 1
		.amdhsa_uses_dynamic_stack 0
		.amdhsa_enable_private_segment 0
		.amdhsa_system_sgpr_workgroup_id_x 1
		.amdhsa_system_sgpr_workgroup_id_y 0
		.amdhsa_system_sgpr_workgroup_id_z 0
		.amdhsa_system_sgpr_workgroup_info 0
		.amdhsa_system_vgpr_workitem_id 0
		.amdhsa_next_free_vgpr 1
		.amdhsa_next_free_sgpr 1
		.amdhsa_reserve_vcc 0
		.amdhsa_float_round_mode_32 0
		.amdhsa_float_round_mode_16_64 0
		.amdhsa_float_denorm_mode_32 3
		.amdhsa_float_denorm_mode_16_64 3
		.amdhsa_fp16_overflow 0
		.amdhsa_workgroup_processor_mode 1
		.amdhsa_memory_ordered 1
		.amdhsa_forward_progress 1
		.amdhsa_inst_pref_size 1
		.amdhsa_round_robin_scheduling 0
		.amdhsa_exception_fp_ieee_invalid_op 0
		.amdhsa_exception_fp_denorm_src 0
		.amdhsa_exception_fp_ieee_div_zero 0
		.amdhsa_exception_fp_ieee_overflow 0
		.amdhsa_exception_fp_ieee_underflow 0
		.amdhsa_exception_fp_ieee_inexact 0
		.amdhsa_exception_int_div_zero 0
	.end_amdhsa_kernel
	.section	.text._ZN2ckL12flush_icacheEv,"axG",@progbits,_ZN2ckL12flush_icacheEv,comdat
.Lfunc_end0:
	.size	_ZN2ckL12flush_icacheEv, .Lfunc_end0-_ZN2ckL12flush_icacheEv
                                        ; -- End function
	.set _ZN2ckL12flush_icacheEv.num_vgpr, 0
	.set _ZN2ckL12flush_icacheEv.num_agpr, 0
	.set _ZN2ckL12flush_icacheEv.numbered_sgpr, 0
	.set _ZN2ckL12flush_icacheEv.num_named_barrier, 0
	.set _ZN2ckL12flush_icacheEv.private_seg_size, 0
	.set _ZN2ckL12flush_icacheEv.uses_vcc, 0
	.set _ZN2ckL12flush_icacheEv.uses_flat_scratch, 0
	.set _ZN2ckL12flush_icacheEv.has_dyn_sized_stack, 0
	.set _ZN2ckL12flush_icacheEv.has_recursion, 0
	.set _ZN2ckL12flush_icacheEv.has_indirect_call, 0
	.section	.AMDGPU.csdata,"",@progbits
; Kernel info:
; codeLenInByte = 4
; TotalNumSgprs: 0
; NumVgprs: 0
; ScratchSize: 0
; MemoryBound: 0
; FloatMode: 240
; IeeeMode: 1
; LDSByteSize: 0 bytes/workgroup (compile time only)
; SGPRBlocks: 0
; VGPRBlocks: 0
; NumSGPRsForWavesPerEU: 1
; NumVGPRsForWavesPerEU: 1
; Occupancy: 16
; WaveLimiterHint : 0
; COMPUTE_PGM_RSRC2:SCRATCH_EN: 0
; COMPUTE_PGM_RSRC2:USER_SGPR: 0
; COMPUTE_PGM_RSRC2:TRAP_HANDLER: 0
; COMPUTE_PGM_RSRC2:TGID_X_EN: 1
; COMPUTE_PGM_RSRC2:TGID_Y_EN: 0
; COMPUTE_PGM_RSRC2:TGID_Z_EN: 0
; COMPUTE_PGM_RSRC2:TIDIG_COMP_CNT: 0
	.section	.text._ZN2ck27kernel_gemm_xdl_cshuffle_v3INS_28GridwiseGemm_xdl_cshuffle_v3INS_13tensor_layout4gemm8RowMajorENS3_11ColumnMajorES4_fffffNS_16tensor_operation12element_wise11PassThroughES8_S8_LNS6_6device18GemmSpecializationE0ELi128ELi64ELi64ELi64ELi4ELi4ELi16ELi16ELi2ELi4ENS_8SequenceIJLi4ELi32ELi1EEEENSB_IJLi1ELi0ELi2EEEESD_Li2ELi2ELi2ELb0ELi0ESC_SD_SD_Li2ELi2ELi2ELb0ELi0ELi1ELi2ENSB_IJLi1ELi32ELi1ELi4EEEELi2ELNS_26BlockGemmPipelineSchedulerE0ELNS_24BlockGemmPipelineVersionE2EffLb0ELb0ELb0ELi0ELb0EEELb1ELNS_25InMemoryDataOperationEnumE1ELi2ELNS_10TailNumberE10EEEvNT_8ArgumentE,"axG",@progbits,_ZN2ck27kernel_gemm_xdl_cshuffle_v3INS_28GridwiseGemm_xdl_cshuffle_v3INS_13tensor_layout4gemm8RowMajorENS3_11ColumnMajorES4_fffffNS_16tensor_operation12element_wise11PassThroughES8_S8_LNS6_6device18GemmSpecializationE0ELi128ELi64ELi64ELi64ELi4ELi4ELi16ELi16ELi2ELi4ENS_8SequenceIJLi4ELi32ELi1EEEENSB_IJLi1ELi0ELi2EEEESD_Li2ELi2ELi2ELb0ELi0ESC_SD_SD_Li2ELi2ELi2ELb0ELi0ELi1ELi2ENSB_IJLi1ELi32ELi1ELi4EEEELi2ELNS_26BlockGemmPipelineSchedulerE0ELNS_24BlockGemmPipelineVersionE2EffLb0ELb0ELb0ELi0ELb0EEELb1ELNS_25InMemoryDataOperationEnumE1ELi2ELNS_10TailNumberE10EEEvNT_8ArgumentE,comdat
	.protected	_ZN2ck27kernel_gemm_xdl_cshuffle_v3INS_28GridwiseGemm_xdl_cshuffle_v3INS_13tensor_layout4gemm8RowMajorENS3_11ColumnMajorES4_fffffNS_16tensor_operation12element_wise11PassThroughES8_S8_LNS6_6device18GemmSpecializationE0ELi128ELi64ELi64ELi64ELi4ELi4ELi16ELi16ELi2ELi4ENS_8SequenceIJLi4ELi32ELi1EEEENSB_IJLi1ELi0ELi2EEEESD_Li2ELi2ELi2ELb0ELi0ESC_SD_SD_Li2ELi2ELi2ELb0ELi0ELi1ELi2ENSB_IJLi1ELi32ELi1ELi4EEEELi2ELNS_26BlockGemmPipelineSchedulerE0ELNS_24BlockGemmPipelineVersionE2EffLb0ELb0ELb0ELi0ELb0EEELb1ELNS_25InMemoryDataOperationEnumE1ELi2ELNS_10TailNumberE10EEEvNT_8ArgumentE ; -- Begin function _ZN2ck27kernel_gemm_xdl_cshuffle_v3INS_28GridwiseGemm_xdl_cshuffle_v3INS_13tensor_layout4gemm8RowMajorENS3_11ColumnMajorES4_fffffNS_16tensor_operation12element_wise11PassThroughES8_S8_LNS6_6device18GemmSpecializationE0ELi128ELi64ELi64ELi64ELi4ELi4ELi16ELi16ELi2ELi4ENS_8SequenceIJLi4ELi32ELi1EEEENSB_IJLi1ELi0ELi2EEEESD_Li2ELi2ELi2ELb0ELi0ESC_SD_SD_Li2ELi2ELi2ELb0ELi0ELi1ELi2ENSB_IJLi1ELi32ELi1ELi4EEEELi2ELNS_26BlockGemmPipelineSchedulerE0ELNS_24BlockGemmPipelineVersionE2EffLb0ELb0ELb0ELi0ELb0EEELb1ELNS_25InMemoryDataOperationEnumE1ELi2ELNS_10TailNumberE10EEEvNT_8ArgumentE
	.globl	_ZN2ck27kernel_gemm_xdl_cshuffle_v3INS_28GridwiseGemm_xdl_cshuffle_v3INS_13tensor_layout4gemm8RowMajorENS3_11ColumnMajorES4_fffffNS_16tensor_operation12element_wise11PassThroughES8_S8_LNS6_6device18GemmSpecializationE0ELi128ELi64ELi64ELi64ELi4ELi4ELi16ELi16ELi2ELi4ENS_8SequenceIJLi4ELi32ELi1EEEENSB_IJLi1ELi0ELi2EEEESD_Li2ELi2ELi2ELb0ELi0ESC_SD_SD_Li2ELi2ELi2ELb0ELi0ELi1ELi2ENSB_IJLi1ELi32ELi1ELi4EEEELi2ELNS_26BlockGemmPipelineSchedulerE0ELNS_24BlockGemmPipelineVersionE2EffLb0ELb0ELb0ELi0ELb0EEELb1ELNS_25InMemoryDataOperationEnumE1ELi2ELNS_10TailNumberE10EEEvNT_8ArgumentE
	.p2align	8
	.type	_ZN2ck27kernel_gemm_xdl_cshuffle_v3INS_28GridwiseGemm_xdl_cshuffle_v3INS_13tensor_layout4gemm8RowMajorENS3_11ColumnMajorES4_fffffNS_16tensor_operation12element_wise11PassThroughES8_S8_LNS6_6device18GemmSpecializationE0ELi128ELi64ELi64ELi64ELi4ELi4ELi16ELi16ELi2ELi4ENS_8SequenceIJLi4ELi32ELi1EEEENSB_IJLi1ELi0ELi2EEEESD_Li2ELi2ELi2ELb0ELi0ESC_SD_SD_Li2ELi2ELi2ELb0ELi0ELi1ELi2ENSB_IJLi1ELi32ELi1ELi4EEEELi2ELNS_26BlockGemmPipelineSchedulerE0ELNS_24BlockGemmPipelineVersionE2EffLb0ELb0ELb0ELi0ELb0EEELb1ELNS_25InMemoryDataOperationEnumE1ELi2ELNS_10TailNumberE10EEEvNT_8ArgumentE,@function
_ZN2ck27kernel_gemm_xdl_cshuffle_v3INS_28GridwiseGemm_xdl_cshuffle_v3INS_13tensor_layout4gemm8RowMajorENS3_11ColumnMajorES4_fffffNS_16tensor_operation12element_wise11PassThroughES8_S8_LNS6_6device18GemmSpecializationE0ELi128ELi64ELi64ELi64ELi4ELi4ELi16ELi16ELi2ELi4ENS_8SequenceIJLi4ELi32ELi1EEEENSB_IJLi1ELi0ELi2EEEESD_Li2ELi2ELi2ELb0ELi0ESC_SD_SD_Li2ELi2ELi2ELb0ELi0ELi1ELi2ENSB_IJLi1ELi32ELi1ELi4EEEELi2ELNS_26BlockGemmPipelineSchedulerE0ELNS_24BlockGemmPipelineVersionE2EffLb0ELb0ELb0ELi0ELb0EEELb1ELNS_25InMemoryDataOperationEnumE1ELi2ELNS_10TailNumberE10EEEvNT_8ArgumentE: ; @_ZN2ck27kernel_gemm_xdl_cshuffle_v3INS_28GridwiseGemm_xdl_cshuffle_v3INS_13tensor_layout4gemm8RowMajorENS3_11ColumnMajorES4_fffffNS_16tensor_operation12element_wise11PassThroughES8_S8_LNS6_6device18GemmSpecializationE0ELi128ELi64ELi64ELi64ELi4ELi4ELi16ELi16ELi2ELi4ENS_8SequenceIJLi4ELi32ELi1EEEENSB_IJLi1ELi0ELi2EEEESD_Li2ELi2ELi2ELb0ELi0ESC_SD_SD_Li2ELi2ELi2ELb0ELi0ELi1ELi2ENSB_IJLi1ELi32ELi1ELi4EEEELi2ELNS_26BlockGemmPipelineSchedulerE0ELNS_24BlockGemmPipelineVersionE2EffLb0ELb0ELb0ELi0ELb0EEELb1ELNS_25InMemoryDataOperationEnumE1ELi2ELNS_10TailNumberE10EEEvNT_8ArgumentE
; %bb.0:
	s_endpgm
	.section	.rodata,"a",@progbits
	.p2align	6, 0x0
	.amdhsa_kernel _ZN2ck27kernel_gemm_xdl_cshuffle_v3INS_28GridwiseGemm_xdl_cshuffle_v3INS_13tensor_layout4gemm8RowMajorENS3_11ColumnMajorES4_fffffNS_16tensor_operation12element_wise11PassThroughES8_S8_LNS6_6device18GemmSpecializationE0ELi128ELi64ELi64ELi64ELi4ELi4ELi16ELi16ELi2ELi4ENS_8SequenceIJLi4ELi32ELi1EEEENSB_IJLi1ELi0ELi2EEEESD_Li2ELi2ELi2ELb0ELi0ESC_SD_SD_Li2ELi2ELi2ELb0ELi0ELi1ELi2ENSB_IJLi1ELi32ELi1ELi4EEEELi2ELNS_26BlockGemmPipelineSchedulerE0ELNS_24BlockGemmPipelineVersionE2EffLb0ELb0ELb0ELi0ELb0EEELb1ELNS_25InMemoryDataOperationEnumE1ELi2ELNS_10TailNumberE10EEEvNT_8ArgumentE
		.amdhsa_group_segment_fixed_size 0
		.amdhsa_private_segment_fixed_size 0
		.amdhsa_kernarg_size 112
		.amdhsa_user_sgpr_count 2
		.amdhsa_user_sgpr_dispatch_ptr 0
		.amdhsa_user_sgpr_queue_ptr 0
		.amdhsa_user_sgpr_kernarg_segment_ptr 1
		.amdhsa_user_sgpr_dispatch_id 0
		.amdhsa_user_sgpr_private_segment_size 0
		.amdhsa_wavefront_size32 1
		.amdhsa_uses_dynamic_stack 0
		.amdhsa_enable_private_segment 0
		.amdhsa_system_sgpr_workgroup_id_x 1
		.amdhsa_system_sgpr_workgroup_id_y 0
		.amdhsa_system_sgpr_workgroup_id_z 0
		.amdhsa_system_sgpr_workgroup_info 0
		.amdhsa_system_vgpr_workitem_id 0
		.amdhsa_next_free_vgpr 1
		.amdhsa_next_free_sgpr 1
		.amdhsa_reserve_vcc 0
		.amdhsa_float_round_mode_32 0
		.amdhsa_float_round_mode_16_64 0
		.amdhsa_float_denorm_mode_32 3
		.amdhsa_float_denorm_mode_16_64 3
		.amdhsa_fp16_overflow 0
		.amdhsa_workgroup_processor_mode 1
		.amdhsa_memory_ordered 1
		.amdhsa_forward_progress 1
		.amdhsa_inst_pref_size 1
		.amdhsa_round_robin_scheduling 0
		.amdhsa_exception_fp_ieee_invalid_op 0
		.amdhsa_exception_fp_denorm_src 0
		.amdhsa_exception_fp_ieee_div_zero 0
		.amdhsa_exception_fp_ieee_overflow 0
		.amdhsa_exception_fp_ieee_underflow 0
		.amdhsa_exception_fp_ieee_inexact 0
		.amdhsa_exception_int_div_zero 0
	.end_amdhsa_kernel
	.section	.text._ZN2ck27kernel_gemm_xdl_cshuffle_v3INS_28GridwiseGemm_xdl_cshuffle_v3INS_13tensor_layout4gemm8RowMajorENS3_11ColumnMajorES4_fffffNS_16tensor_operation12element_wise11PassThroughES8_S8_LNS6_6device18GemmSpecializationE0ELi128ELi64ELi64ELi64ELi4ELi4ELi16ELi16ELi2ELi4ENS_8SequenceIJLi4ELi32ELi1EEEENSB_IJLi1ELi0ELi2EEEESD_Li2ELi2ELi2ELb0ELi0ESC_SD_SD_Li2ELi2ELi2ELb0ELi0ELi1ELi2ENSB_IJLi1ELi32ELi1ELi4EEEELi2ELNS_26BlockGemmPipelineSchedulerE0ELNS_24BlockGemmPipelineVersionE2EffLb0ELb0ELb0ELi0ELb0EEELb1ELNS_25InMemoryDataOperationEnumE1ELi2ELNS_10TailNumberE10EEEvNT_8ArgumentE,"axG",@progbits,_ZN2ck27kernel_gemm_xdl_cshuffle_v3INS_28GridwiseGemm_xdl_cshuffle_v3INS_13tensor_layout4gemm8RowMajorENS3_11ColumnMajorES4_fffffNS_16tensor_operation12element_wise11PassThroughES8_S8_LNS6_6device18GemmSpecializationE0ELi128ELi64ELi64ELi64ELi4ELi4ELi16ELi16ELi2ELi4ENS_8SequenceIJLi4ELi32ELi1EEEENSB_IJLi1ELi0ELi2EEEESD_Li2ELi2ELi2ELb0ELi0ESC_SD_SD_Li2ELi2ELi2ELb0ELi0ELi1ELi2ENSB_IJLi1ELi32ELi1ELi4EEEELi2ELNS_26BlockGemmPipelineSchedulerE0ELNS_24BlockGemmPipelineVersionE2EffLb0ELb0ELb0ELi0ELb0EEELb1ELNS_25InMemoryDataOperationEnumE1ELi2ELNS_10TailNumberE10EEEvNT_8ArgumentE,comdat
.Lfunc_end1:
	.size	_ZN2ck27kernel_gemm_xdl_cshuffle_v3INS_28GridwiseGemm_xdl_cshuffle_v3INS_13tensor_layout4gemm8RowMajorENS3_11ColumnMajorES4_fffffNS_16tensor_operation12element_wise11PassThroughES8_S8_LNS6_6device18GemmSpecializationE0ELi128ELi64ELi64ELi64ELi4ELi4ELi16ELi16ELi2ELi4ENS_8SequenceIJLi4ELi32ELi1EEEENSB_IJLi1ELi0ELi2EEEESD_Li2ELi2ELi2ELb0ELi0ESC_SD_SD_Li2ELi2ELi2ELb0ELi0ELi1ELi2ENSB_IJLi1ELi32ELi1ELi4EEEELi2ELNS_26BlockGemmPipelineSchedulerE0ELNS_24BlockGemmPipelineVersionE2EffLb0ELb0ELb0ELi0ELb0EEELb1ELNS_25InMemoryDataOperationEnumE1ELi2ELNS_10TailNumberE10EEEvNT_8ArgumentE, .Lfunc_end1-_ZN2ck27kernel_gemm_xdl_cshuffle_v3INS_28GridwiseGemm_xdl_cshuffle_v3INS_13tensor_layout4gemm8RowMajorENS3_11ColumnMajorES4_fffffNS_16tensor_operation12element_wise11PassThroughES8_S8_LNS6_6device18GemmSpecializationE0ELi128ELi64ELi64ELi64ELi4ELi4ELi16ELi16ELi2ELi4ENS_8SequenceIJLi4ELi32ELi1EEEENSB_IJLi1ELi0ELi2EEEESD_Li2ELi2ELi2ELb0ELi0ESC_SD_SD_Li2ELi2ELi2ELb0ELi0ELi1ELi2ENSB_IJLi1ELi32ELi1ELi4EEEELi2ELNS_26BlockGemmPipelineSchedulerE0ELNS_24BlockGemmPipelineVersionE2EffLb0ELb0ELb0ELi0ELb0EEELb1ELNS_25InMemoryDataOperationEnumE1ELi2ELNS_10TailNumberE10EEEvNT_8ArgumentE
                                        ; -- End function
	.set _ZN2ck27kernel_gemm_xdl_cshuffle_v3INS_28GridwiseGemm_xdl_cshuffle_v3INS_13tensor_layout4gemm8RowMajorENS3_11ColumnMajorES4_fffffNS_16tensor_operation12element_wise11PassThroughES8_S8_LNS6_6device18GemmSpecializationE0ELi128ELi64ELi64ELi64ELi4ELi4ELi16ELi16ELi2ELi4ENS_8SequenceIJLi4ELi32ELi1EEEENSB_IJLi1ELi0ELi2EEEESD_Li2ELi2ELi2ELb0ELi0ESC_SD_SD_Li2ELi2ELi2ELb0ELi0ELi1ELi2ENSB_IJLi1ELi32ELi1ELi4EEEELi2ELNS_26BlockGemmPipelineSchedulerE0ELNS_24BlockGemmPipelineVersionE2EffLb0ELb0ELb0ELi0ELb0EEELb1ELNS_25InMemoryDataOperationEnumE1ELi2ELNS_10TailNumberE10EEEvNT_8ArgumentE.num_vgpr, 0
	.set _ZN2ck27kernel_gemm_xdl_cshuffle_v3INS_28GridwiseGemm_xdl_cshuffle_v3INS_13tensor_layout4gemm8RowMajorENS3_11ColumnMajorES4_fffffNS_16tensor_operation12element_wise11PassThroughES8_S8_LNS6_6device18GemmSpecializationE0ELi128ELi64ELi64ELi64ELi4ELi4ELi16ELi16ELi2ELi4ENS_8SequenceIJLi4ELi32ELi1EEEENSB_IJLi1ELi0ELi2EEEESD_Li2ELi2ELi2ELb0ELi0ESC_SD_SD_Li2ELi2ELi2ELb0ELi0ELi1ELi2ENSB_IJLi1ELi32ELi1ELi4EEEELi2ELNS_26BlockGemmPipelineSchedulerE0ELNS_24BlockGemmPipelineVersionE2EffLb0ELb0ELb0ELi0ELb0EEELb1ELNS_25InMemoryDataOperationEnumE1ELi2ELNS_10TailNumberE10EEEvNT_8ArgumentE.num_agpr, 0
	.set _ZN2ck27kernel_gemm_xdl_cshuffle_v3INS_28GridwiseGemm_xdl_cshuffle_v3INS_13tensor_layout4gemm8RowMajorENS3_11ColumnMajorES4_fffffNS_16tensor_operation12element_wise11PassThroughES8_S8_LNS6_6device18GemmSpecializationE0ELi128ELi64ELi64ELi64ELi4ELi4ELi16ELi16ELi2ELi4ENS_8SequenceIJLi4ELi32ELi1EEEENSB_IJLi1ELi0ELi2EEEESD_Li2ELi2ELi2ELb0ELi0ESC_SD_SD_Li2ELi2ELi2ELb0ELi0ELi1ELi2ENSB_IJLi1ELi32ELi1ELi4EEEELi2ELNS_26BlockGemmPipelineSchedulerE0ELNS_24BlockGemmPipelineVersionE2EffLb0ELb0ELb0ELi0ELb0EEELb1ELNS_25InMemoryDataOperationEnumE1ELi2ELNS_10TailNumberE10EEEvNT_8ArgumentE.numbered_sgpr, 0
	.set _ZN2ck27kernel_gemm_xdl_cshuffle_v3INS_28GridwiseGemm_xdl_cshuffle_v3INS_13tensor_layout4gemm8RowMajorENS3_11ColumnMajorES4_fffffNS_16tensor_operation12element_wise11PassThroughES8_S8_LNS6_6device18GemmSpecializationE0ELi128ELi64ELi64ELi64ELi4ELi4ELi16ELi16ELi2ELi4ENS_8SequenceIJLi4ELi32ELi1EEEENSB_IJLi1ELi0ELi2EEEESD_Li2ELi2ELi2ELb0ELi0ESC_SD_SD_Li2ELi2ELi2ELb0ELi0ELi1ELi2ENSB_IJLi1ELi32ELi1ELi4EEEELi2ELNS_26BlockGemmPipelineSchedulerE0ELNS_24BlockGemmPipelineVersionE2EffLb0ELb0ELb0ELi0ELb0EEELb1ELNS_25InMemoryDataOperationEnumE1ELi2ELNS_10TailNumberE10EEEvNT_8ArgumentE.num_named_barrier, 0
	.set _ZN2ck27kernel_gemm_xdl_cshuffle_v3INS_28GridwiseGemm_xdl_cshuffle_v3INS_13tensor_layout4gemm8RowMajorENS3_11ColumnMajorES4_fffffNS_16tensor_operation12element_wise11PassThroughES8_S8_LNS6_6device18GemmSpecializationE0ELi128ELi64ELi64ELi64ELi4ELi4ELi16ELi16ELi2ELi4ENS_8SequenceIJLi4ELi32ELi1EEEENSB_IJLi1ELi0ELi2EEEESD_Li2ELi2ELi2ELb0ELi0ESC_SD_SD_Li2ELi2ELi2ELb0ELi0ELi1ELi2ENSB_IJLi1ELi32ELi1ELi4EEEELi2ELNS_26BlockGemmPipelineSchedulerE0ELNS_24BlockGemmPipelineVersionE2EffLb0ELb0ELb0ELi0ELb0EEELb1ELNS_25InMemoryDataOperationEnumE1ELi2ELNS_10TailNumberE10EEEvNT_8ArgumentE.private_seg_size, 0
	.set _ZN2ck27kernel_gemm_xdl_cshuffle_v3INS_28GridwiseGemm_xdl_cshuffle_v3INS_13tensor_layout4gemm8RowMajorENS3_11ColumnMajorES4_fffffNS_16tensor_operation12element_wise11PassThroughES8_S8_LNS6_6device18GemmSpecializationE0ELi128ELi64ELi64ELi64ELi4ELi4ELi16ELi16ELi2ELi4ENS_8SequenceIJLi4ELi32ELi1EEEENSB_IJLi1ELi0ELi2EEEESD_Li2ELi2ELi2ELb0ELi0ESC_SD_SD_Li2ELi2ELi2ELb0ELi0ELi1ELi2ENSB_IJLi1ELi32ELi1ELi4EEEELi2ELNS_26BlockGemmPipelineSchedulerE0ELNS_24BlockGemmPipelineVersionE2EffLb0ELb0ELb0ELi0ELb0EEELb1ELNS_25InMemoryDataOperationEnumE1ELi2ELNS_10TailNumberE10EEEvNT_8ArgumentE.uses_vcc, 0
	.set _ZN2ck27kernel_gemm_xdl_cshuffle_v3INS_28GridwiseGemm_xdl_cshuffle_v3INS_13tensor_layout4gemm8RowMajorENS3_11ColumnMajorES4_fffffNS_16tensor_operation12element_wise11PassThroughES8_S8_LNS6_6device18GemmSpecializationE0ELi128ELi64ELi64ELi64ELi4ELi4ELi16ELi16ELi2ELi4ENS_8SequenceIJLi4ELi32ELi1EEEENSB_IJLi1ELi0ELi2EEEESD_Li2ELi2ELi2ELb0ELi0ESC_SD_SD_Li2ELi2ELi2ELb0ELi0ELi1ELi2ENSB_IJLi1ELi32ELi1ELi4EEEELi2ELNS_26BlockGemmPipelineSchedulerE0ELNS_24BlockGemmPipelineVersionE2EffLb0ELb0ELb0ELi0ELb0EEELb1ELNS_25InMemoryDataOperationEnumE1ELi2ELNS_10TailNumberE10EEEvNT_8ArgumentE.uses_flat_scratch, 0
	.set _ZN2ck27kernel_gemm_xdl_cshuffle_v3INS_28GridwiseGemm_xdl_cshuffle_v3INS_13tensor_layout4gemm8RowMajorENS3_11ColumnMajorES4_fffffNS_16tensor_operation12element_wise11PassThroughES8_S8_LNS6_6device18GemmSpecializationE0ELi128ELi64ELi64ELi64ELi4ELi4ELi16ELi16ELi2ELi4ENS_8SequenceIJLi4ELi32ELi1EEEENSB_IJLi1ELi0ELi2EEEESD_Li2ELi2ELi2ELb0ELi0ESC_SD_SD_Li2ELi2ELi2ELb0ELi0ELi1ELi2ENSB_IJLi1ELi32ELi1ELi4EEEELi2ELNS_26BlockGemmPipelineSchedulerE0ELNS_24BlockGemmPipelineVersionE2EffLb0ELb0ELb0ELi0ELb0EEELb1ELNS_25InMemoryDataOperationEnumE1ELi2ELNS_10TailNumberE10EEEvNT_8ArgumentE.has_dyn_sized_stack, 0
	.set _ZN2ck27kernel_gemm_xdl_cshuffle_v3INS_28GridwiseGemm_xdl_cshuffle_v3INS_13tensor_layout4gemm8RowMajorENS3_11ColumnMajorES4_fffffNS_16tensor_operation12element_wise11PassThroughES8_S8_LNS6_6device18GemmSpecializationE0ELi128ELi64ELi64ELi64ELi4ELi4ELi16ELi16ELi2ELi4ENS_8SequenceIJLi4ELi32ELi1EEEENSB_IJLi1ELi0ELi2EEEESD_Li2ELi2ELi2ELb0ELi0ESC_SD_SD_Li2ELi2ELi2ELb0ELi0ELi1ELi2ENSB_IJLi1ELi32ELi1ELi4EEEELi2ELNS_26BlockGemmPipelineSchedulerE0ELNS_24BlockGemmPipelineVersionE2EffLb0ELb0ELb0ELi0ELb0EEELb1ELNS_25InMemoryDataOperationEnumE1ELi2ELNS_10TailNumberE10EEEvNT_8ArgumentE.has_recursion, 0
	.set _ZN2ck27kernel_gemm_xdl_cshuffle_v3INS_28GridwiseGemm_xdl_cshuffle_v3INS_13tensor_layout4gemm8RowMajorENS3_11ColumnMajorES4_fffffNS_16tensor_operation12element_wise11PassThroughES8_S8_LNS6_6device18GemmSpecializationE0ELi128ELi64ELi64ELi64ELi4ELi4ELi16ELi16ELi2ELi4ENS_8SequenceIJLi4ELi32ELi1EEEENSB_IJLi1ELi0ELi2EEEESD_Li2ELi2ELi2ELb0ELi0ESC_SD_SD_Li2ELi2ELi2ELb0ELi0ELi1ELi2ENSB_IJLi1ELi32ELi1ELi4EEEELi2ELNS_26BlockGemmPipelineSchedulerE0ELNS_24BlockGemmPipelineVersionE2EffLb0ELb0ELb0ELi0ELb0EEELb1ELNS_25InMemoryDataOperationEnumE1ELi2ELNS_10TailNumberE10EEEvNT_8ArgumentE.has_indirect_call, 0
	.section	.AMDGPU.csdata,"",@progbits
; Kernel info:
; codeLenInByte = 4
; TotalNumSgprs: 0
; NumVgprs: 0
; ScratchSize: 0
; MemoryBound: 0
; FloatMode: 240
; IeeeMode: 1
; LDSByteSize: 0 bytes/workgroup (compile time only)
; SGPRBlocks: 0
; VGPRBlocks: 0
; NumSGPRsForWavesPerEU: 1
; NumVGPRsForWavesPerEU: 1
; Occupancy: 16
; WaveLimiterHint : 0
; COMPUTE_PGM_RSRC2:SCRATCH_EN: 0
; COMPUTE_PGM_RSRC2:USER_SGPR: 2
; COMPUTE_PGM_RSRC2:TRAP_HANDLER: 0
; COMPUTE_PGM_RSRC2:TGID_X_EN: 1
; COMPUTE_PGM_RSRC2:TGID_Y_EN: 0
; COMPUTE_PGM_RSRC2:TGID_Z_EN: 0
; COMPUTE_PGM_RSRC2:TIDIG_COMP_CNT: 0
	.section	.text._ZN2ck27kernel_gemm_xdl_cshuffle_v3INS_28GridwiseGemm_xdl_cshuffle_v3INS_13tensor_layout4gemm8RowMajorENS3_11ColumnMajorES4_fffffNS_16tensor_operation12element_wise11PassThroughES8_S8_LNS6_6device18GemmSpecializationE0ELi128ELi64ELi64ELi64ELi4ELi4ELi16ELi16ELi2ELi4ENS_8SequenceIJLi4ELi32ELi1EEEENSB_IJLi1ELi0ELi2EEEESD_Li2ELi2ELi2ELb0ELi0ESC_SD_SD_Li2ELi2ELi2ELb0ELi0ELi1ELi2ENSB_IJLi1ELi32ELi1ELi4EEEELi2ELNS_26BlockGemmPipelineSchedulerE0ELNS_24BlockGemmPipelineVersionE2EffLb0ELb0ELb0ELi0ELb0EEELb1ELNS_25InMemoryDataOperationEnumE0ELi2ELNS_10TailNumberE10EEEvNT_8ArgumentE,"axG",@progbits,_ZN2ck27kernel_gemm_xdl_cshuffle_v3INS_28GridwiseGemm_xdl_cshuffle_v3INS_13tensor_layout4gemm8RowMajorENS3_11ColumnMajorES4_fffffNS_16tensor_operation12element_wise11PassThroughES8_S8_LNS6_6device18GemmSpecializationE0ELi128ELi64ELi64ELi64ELi4ELi4ELi16ELi16ELi2ELi4ENS_8SequenceIJLi4ELi32ELi1EEEENSB_IJLi1ELi0ELi2EEEESD_Li2ELi2ELi2ELb0ELi0ESC_SD_SD_Li2ELi2ELi2ELb0ELi0ELi1ELi2ENSB_IJLi1ELi32ELi1ELi4EEEELi2ELNS_26BlockGemmPipelineSchedulerE0ELNS_24BlockGemmPipelineVersionE2EffLb0ELb0ELb0ELi0ELb0EEELb1ELNS_25InMemoryDataOperationEnumE0ELi2ELNS_10TailNumberE10EEEvNT_8ArgumentE,comdat
	.protected	_ZN2ck27kernel_gemm_xdl_cshuffle_v3INS_28GridwiseGemm_xdl_cshuffle_v3INS_13tensor_layout4gemm8RowMajorENS3_11ColumnMajorES4_fffffNS_16tensor_operation12element_wise11PassThroughES8_S8_LNS6_6device18GemmSpecializationE0ELi128ELi64ELi64ELi64ELi4ELi4ELi16ELi16ELi2ELi4ENS_8SequenceIJLi4ELi32ELi1EEEENSB_IJLi1ELi0ELi2EEEESD_Li2ELi2ELi2ELb0ELi0ESC_SD_SD_Li2ELi2ELi2ELb0ELi0ELi1ELi2ENSB_IJLi1ELi32ELi1ELi4EEEELi2ELNS_26BlockGemmPipelineSchedulerE0ELNS_24BlockGemmPipelineVersionE2EffLb0ELb0ELb0ELi0ELb0EEELb1ELNS_25InMemoryDataOperationEnumE0ELi2ELNS_10TailNumberE10EEEvNT_8ArgumentE ; -- Begin function _ZN2ck27kernel_gemm_xdl_cshuffle_v3INS_28GridwiseGemm_xdl_cshuffle_v3INS_13tensor_layout4gemm8RowMajorENS3_11ColumnMajorES4_fffffNS_16tensor_operation12element_wise11PassThroughES8_S8_LNS6_6device18GemmSpecializationE0ELi128ELi64ELi64ELi64ELi4ELi4ELi16ELi16ELi2ELi4ENS_8SequenceIJLi4ELi32ELi1EEEENSB_IJLi1ELi0ELi2EEEESD_Li2ELi2ELi2ELb0ELi0ESC_SD_SD_Li2ELi2ELi2ELb0ELi0ELi1ELi2ENSB_IJLi1ELi32ELi1ELi4EEEELi2ELNS_26BlockGemmPipelineSchedulerE0ELNS_24BlockGemmPipelineVersionE2EffLb0ELb0ELb0ELi0ELb0EEELb1ELNS_25InMemoryDataOperationEnumE0ELi2ELNS_10TailNumberE10EEEvNT_8ArgumentE
	.globl	_ZN2ck27kernel_gemm_xdl_cshuffle_v3INS_28GridwiseGemm_xdl_cshuffle_v3INS_13tensor_layout4gemm8RowMajorENS3_11ColumnMajorES4_fffffNS_16tensor_operation12element_wise11PassThroughES8_S8_LNS6_6device18GemmSpecializationE0ELi128ELi64ELi64ELi64ELi4ELi4ELi16ELi16ELi2ELi4ENS_8SequenceIJLi4ELi32ELi1EEEENSB_IJLi1ELi0ELi2EEEESD_Li2ELi2ELi2ELb0ELi0ESC_SD_SD_Li2ELi2ELi2ELb0ELi0ELi1ELi2ENSB_IJLi1ELi32ELi1ELi4EEEELi2ELNS_26BlockGemmPipelineSchedulerE0ELNS_24BlockGemmPipelineVersionE2EffLb0ELb0ELb0ELi0ELb0EEELb1ELNS_25InMemoryDataOperationEnumE0ELi2ELNS_10TailNumberE10EEEvNT_8ArgumentE
	.p2align	8
	.type	_ZN2ck27kernel_gemm_xdl_cshuffle_v3INS_28GridwiseGemm_xdl_cshuffle_v3INS_13tensor_layout4gemm8RowMajorENS3_11ColumnMajorES4_fffffNS_16tensor_operation12element_wise11PassThroughES8_S8_LNS6_6device18GemmSpecializationE0ELi128ELi64ELi64ELi64ELi4ELi4ELi16ELi16ELi2ELi4ENS_8SequenceIJLi4ELi32ELi1EEEENSB_IJLi1ELi0ELi2EEEESD_Li2ELi2ELi2ELb0ELi0ESC_SD_SD_Li2ELi2ELi2ELb0ELi0ELi1ELi2ENSB_IJLi1ELi32ELi1ELi4EEEELi2ELNS_26BlockGemmPipelineSchedulerE0ELNS_24BlockGemmPipelineVersionE2EffLb0ELb0ELb0ELi0ELb0EEELb1ELNS_25InMemoryDataOperationEnumE0ELi2ELNS_10TailNumberE10EEEvNT_8ArgumentE,@function
_ZN2ck27kernel_gemm_xdl_cshuffle_v3INS_28GridwiseGemm_xdl_cshuffle_v3INS_13tensor_layout4gemm8RowMajorENS3_11ColumnMajorES4_fffffNS_16tensor_operation12element_wise11PassThroughES8_S8_LNS6_6device18GemmSpecializationE0ELi128ELi64ELi64ELi64ELi4ELi4ELi16ELi16ELi2ELi4ENS_8SequenceIJLi4ELi32ELi1EEEENSB_IJLi1ELi0ELi2EEEESD_Li2ELi2ELi2ELb0ELi0ESC_SD_SD_Li2ELi2ELi2ELb0ELi0ELi1ELi2ENSB_IJLi1ELi32ELi1ELi4EEEELi2ELNS_26BlockGemmPipelineSchedulerE0ELNS_24BlockGemmPipelineVersionE2EffLb0ELb0ELb0ELi0ELb0EEELb1ELNS_25InMemoryDataOperationEnumE0ELi2ELNS_10TailNumberE10EEEvNT_8ArgumentE: ; @_ZN2ck27kernel_gemm_xdl_cshuffle_v3INS_28GridwiseGemm_xdl_cshuffle_v3INS_13tensor_layout4gemm8RowMajorENS3_11ColumnMajorES4_fffffNS_16tensor_operation12element_wise11PassThroughES8_S8_LNS6_6device18GemmSpecializationE0ELi128ELi64ELi64ELi64ELi4ELi4ELi16ELi16ELi2ELi4ENS_8SequenceIJLi4ELi32ELi1EEEENSB_IJLi1ELi0ELi2EEEESD_Li2ELi2ELi2ELb0ELi0ESC_SD_SD_Li2ELi2ELi2ELb0ELi0ELi1ELi2ENSB_IJLi1ELi32ELi1ELi4EEEELi2ELNS_26BlockGemmPipelineSchedulerE0ELNS_24BlockGemmPipelineVersionE2EffLb0ELb0ELb0ELi0ELb0EEELb1ELNS_25InMemoryDataOperationEnumE0ELi2ELNS_10TailNumberE10EEEvNT_8ArgumentE
; %bb.0:
	s_endpgm
	.section	.rodata,"a",@progbits
	.p2align	6, 0x0
	.amdhsa_kernel _ZN2ck27kernel_gemm_xdl_cshuffle_v3INS_28GridwiseGemm_xdl_cshuffle_v3INS_13tensor_layout4gemm8RowMajorENS3_11ColumnMajorES4_fffffNS_16tensor_operation12element_wise11PassThroughES8_S8_LNS6_6device18GemmSpecializationE0ELi128ELi64ELi64ELi64ELi4ELi4ELi16ELi16ELi2ELi4ENS_8SequenceIJLi4ELi32ELi1EEEENSB_IJLi1ELi0ELi2EEEESD_Li2ELi2ELi2ELb0ELi0ESC_SD_SD_Li2ELi2ELi2ELb0ELi0ELi1ELi2ENSB_IJLi1ELi32ELi1ELi4EEEELi2ELNS_26BlockGemmPipelineSchedulerE0ELNS_24BlockGemmPipelineVersionE2EffLb0ELb0ELb0ELi0ELb0EEELb1ELNS_25InMemoryDataOperationEnumE0ELi2ELNS_10TailNumberE10EEEvNT_8ArgumentE
		.amdhsa_group_segment_fixed_size 0
		.amdhsa_private_segment_fixed_size 0
		.amdhsa_kernarg_size 112
		.amdhsa_user_sgpr_count 2
		.amdhsa_user_sgpr_dispatch_ptr 0
		.amdhsa_user_sgpr_queue_ptr 0
		.amdhsa_user_sgpr_kernarg_segment_ptr 1
		.amdhsa_user_sgpr_dispatch_id 0
		.amdhsa_user_sgpr_private_segment_size 0
		.amdhsa_wavefront_size32 1
		.amdhsa_uses_dynamic_stack 0
		.amdhsa_enable_private_segment 0
		.amdhsa_system_sgpr_workgroup_id_x 1
		.amdhsa_system_sgpr_workgroup_id_y 0
		.amdhsa_system_sgpr_workgroup_id_z 0
		.amdhsa_system_sgpr_workgroup_info 0
		.amdhsa_system_vgpr_workitem_id 0
		.amdhsa_next_free_vgpr 1
		.amdhsa_next_free_sgpr 1
		.amdhsa_reserve_vcc 0
		.amdhsa_float_round_mode_32 0
		.amdhsa_float_round_mode_16_64 0
		.amdhsa_float_denorm_mode_32 3
		.amdhsa_float_denorm_mode_16_64 3
		.amdhsa_fp16_overflow 0
		.amdhsa_workgroup_processor_mode 1
		.amdhsa_memory_ordered 1
		.amdhsa_forward_progress 1
		.amdhsa_inst_pref_size 1
		.amdhsa_round_robin_scheduling 0
		.amdhsa_exception_fp_ieee_invalid_op 0
		.amdhsa_exception_fp_denorm_src 0
		.amdhsa_exception_fp_ieee_div_zero 0
		.amdhsa_exception_fp_ieee_overflow 0
		.amdhsa_exception_fp_ieee_underflow 0
		.amdhsa_exception_fp_ieee_inexact 0
		.amdhsa_exception_int_div_zero 0
	.end_amdhsa_kernel
	.section	.text._ZN2ck27kernel_gemm_xdl_cshuffle_v3INS_28GridwiseGemm_xdl_cshuffle_v3INS_13tensor_layout4gemm8RowMajorENS3_11ColumnMajorES4_fffffNS_16tensor_operation12element_wise11PassThroughES8_S8_LNS6_6device18GemmSpecializationE0ELi128ELi64ELi64ELi64ELi4ELi4ELi16ELi16ELi2ELi4ENS_8SequenceIJLi4ELi32ELi1EEEENSB_IJLi1ELi0ELi2EEEESD_Li2ELi2ELi2ELb0ELi0ESC_SD_SD_Li2ELi2ELi2ELb0ELi0ELi1ELi2ENSB_IJLi1ELi32ELi1ELi4EEEELi2ELNS_26BlockGemmPipelineSchedulerE0ELNS_24BlockGemmPipelineVersionE2EffLb0ELb0ELb0ELi0ELb0EEELb1ELNS_25InMemoryDataOperationEnumE0ELi2ELNS_10TailNumberE10EEEvNT_8ArgumentE,"axG",@progbits,_ZN2ck27kernel_gemm_xdl_cshuffle_v3INS_28GridwiseGemm_xdl_cshuffle_v3INS_13tensor_layout4gemm8RowMajorENS3_11ColumnMajorES4_fffffNS_16tensor_operation12element_wise11PassThroughES8_S8_LNS6_6device18GemmSpecializationE0ELi128ELi64ELi64ELi64ELi4ELi4ELi16ELi16ELi2ELi4ENS_8SequenceIJLi4ELi32ELi1EEEENSB_IJLi1ELi0ELi2EEEESD_Li2ELi2ELi2ELb0ELi0ESC_SD_SD_Li2ELi2ELi2ELb0ELi0ELi1ELi2ENSB_IJLi1ELi32ELi1ELi4EEEELi2ELNS_26BlockGemmPipelineSchedulerE0ELNS_24BlockGemmPipelineVersionE2EffLb0ELb0ELb0ELi0ELb0EEELb1ELNS_25InMemoryDataOperationEnumE0ELi2ELNS_10TailNumberE10EEEvNT_8ArgumentE,comdat
.Lfunc_end2:
	.size	_ZN2ck27kernel_gemm_xdl_cshuffle_v3INS_28GridwiseGemm_xdl_cshuffle_v3INS_13tensor_layout4gemm8RowMajorENS3_11ColumnMajorES4_fffffNS_16tensor_operation12element_wise11PassThroughES8_S8_LNS6_6device18GemmSpecializationE0ELi128ELi64ELi64ELi64ELi4ELi4ELi16ELi16ELi2ELi4ENS_8SequenceIJLi4ELi32ELi1EEEENSB_IJLi1ELi0ELi2EEEESD_Li2ELi2ELi2ELb0ELi0ESC_SD_SD_Li2ELi2ELi2ELb0ELi0ELi1ELi2ENSB_IJLi1ELi32ELi1ELi4EEEELi2ELNS_26BlockGemmPipelineSchedulerE0ELNS_24BlockGemmPipelineVersionE2EffLb0ELb0ELb0ELi0ELb0EEELb1ELNS_25InMemoryDataOperationEnumE0ELi2ELNS_10TailNumberE10EEEvNT_8ArgumentE, .Lfunc_end2-_ZN2ck27kernel_gemm_xdl_cshuffle_v3INS_28GridwiseGemm_xdl_cshuffle_v3INS_13tensor_layout4gemm8RowMajorENS3_11ColumnMajorES4_fffffNS_16tensor_operation12element_wise11PassThroughES8_S8_LNS6_6device18GemmSpecializationE0ELi128ELi64ELi64ELi64ELi4ELi4ELi16ELi16ELi2ELi4ENS_8SequenceIJLi4ELi32ELi1EEEENSB_IJLi1ELi0ELi2EEEESD_Li2ELi2ELi2ELb0ELi0ESC_SD_SD_Li2ELi2ELi2ELb0ELi0ELi1ELi2ENSB_IJLi1ELi32ELi1ELi4EEEELi2ELNS_26BlockGemmPipelineSchedulerE0ELNS_24BlockGemmPipelineVersionE2EffLb0ELb0ELb0ELi0ELb0EEELb1ELNS_25InMemoryDataOperationEnumE0ELi2ELNS_10TailNumberE10EEEvNT_8ArgumentE
                                        ; -- End function
	.set _ZN2ck27kernel_gemm_xdl_cshuffle_v3INS_28GridwiseGemm_xdl_cshuffle_v3INS_13tensor_layout4gemm8RowMajorENS3_11ColumnMajorES4_fffffNS_16tensor_operation12element_wise11PassThroughES8_S8_LNS6_6device18GemmSpecializationE0ELi128ELi64ELi64ELi64ELi4ELi4ELi16ELi16ELi2ELi4ENS_8SequenceIJLi4ELi32ELi1EEEENSB_IJLi1ELi0ELi2EEEESD_Li2ELi2ELi2ELb0ELi0ESC_SD_SD_Li2ELi2ELi2ELb0ELi0ELi1ELi2ENSB_IJLi1ELi32ELi1ELi4EEEELi2ELNS_26BlockGemmPipelineSchedulerE0ELNS_24BlockGemmPipelineVersionE2EffLb0ELb0ELb0ELi0ELb0EEELb1ELNS_25InMemoryDataOperationEnumE0ELi2ELNS_10TailNumberE10EEEvNT_8ArgumentE.num_vgpr, 0
	.set _ZN2ck27kernel_gemm_xdl_cshuffle_v3INS_28GridwiseGemm_xdl_cshuffle_v3INS_13tensor_layout4gemm8RowMajorENS3_11ColumnMajorES4_fffffNS_16tensor_operation12element_wise11PassThroughES8_S8_LNS6_6device18GemmSpecializationE0ELi128ELi64ELi64ELi64ELi4ELi4ELi16ELi16ELi2ELi4ENS_8SequenceIJLi4ELi32ELi1EEEENSB_IJLi1ELi0ELi2EEEESD_Li2ELi2ELi2ELb0ELi0ESC_SD_SD_Li2ELi2ELi2ELb0ELi0ELi1ELi2ENSB_IJLi1ELi32ELi1ELi4EEEELi2ELNS_26BlockGemmPipelineSchedulerE0ELNS_24BlockGemmPipelineVersionE2EffLb0ELb0ELb0ELi0ELb0EEELb1ELNS_25InMemoryDataOperationEnumE0ELi2ELNS_10TailNumberE10EEEvNT_8ArgumentE.num_agpr, 0
	.set _ZN2ck27kernel_gemm_xdl_cshuffle_v3INS_28GridwiseGemm_xdl_cshuffle_v3INS_13tensor_layout4gemm8RowMajorENS3_11ColumnMajorES4_fffffNS_16tensor_operation12element_wise11PassThroughES8_S8_LNS6_6device18GemmSpecializationE0ELi128ELi64ELi64ELi64ELi4ELi4ELi16ELi16ELi2ELi4ENS_8SequenceIJLi4ELi32ELi1EEEENSB_IJLi1ELi0ELi2EEEESD_Li2ELi2ELi2ELb0ELi0ESC_SD_SD_Li2ELi2ELi2ELb0ELi0ELi1ELi2ENSB_IJLi1ELi32ELi1ELi4EEEELi2ELNS_26BlockGemmPipelineSchedulerE0ELNS_24BlockGemmPipelineVersionE2EffLb0ELb0ELb0ELi0ELb0EEELb1ELNS_25InMemoryDataOperationEnumE0ELi2ELNS_10TailNumberE10EEEvNT_8ArgumentE.numbered_sgpr, 0
	.set _ZN2ck27kernel_gemm_xdl_cshuffle_v3INS_28GridwiseGemm_xdl_cshuffle_v3INS_13tensor_layout4gemm8RowMajorENS3_11ColumnMajorES4_fffffNS_16tensor_operation12element_wise11PassThroughES8_S8_LNS6_6device18GemmSpecializationE0ELi128ELi64ELi64ELi64ELi4ELi4ELi16ELi16ELi2ELi4ENS_8SequenceIJLi4ELi32ELi1EEEENSB_IJLi1ELi0ELi2EEEESD_Li2ELi2ELi2ELb0ELi0ESC_SD_SD_Li2ELi2ELi2ELb0ELi0ELi1ELi2ENSB_IJLi1ELi32ELi1ELi4EEEELi2ELNS_26BlockGemmPipelineSchedulerE0ELNS_24BlockGemmPipelineVersionE2EffLb0ELb0ELb0ELi0ELb0EEELb1ELNS_25InMemoryDataOperationEnumE0ELi2ELNS_10TailNumberE10EEEvNT_8ArgumentE.num_named_barrier, 0
	.set _ZN2ck27kernel_gemm_xdl_cshuffle_v3INS_28GridwiseGemm_xdl_cshuffle_v3INS_13tensor_layout4gemm8RowMajorENS3_11ColumnMajorES4_fffffNS_16tensor_operation12element_wise11PassThroughES8_S8_LNS6_6device18GemmSpecializationE0ELi128ELi64ELi64ELi64ELi4ELi4ELi16ELi16ELi2ELi4ENS_8SequenceIJLi4ELi32ELi1EEEENSB_IJLi1ELi0ELi2EEEESD_Li2ELi2ELi2ELb0ELi0ESC_SD_SD_Li2ELi2ELi2ELb0ELi0ELi1ELi2ENSB_IJLi1ELi32ELi1ELi4EEEELi2ELNS_26BlockGemmPipelineSchedulerE0ELNS_24BlockGemmPipelineVersionE2EffLb0ELb0ELb0ELi0ELb0EEELb1ELNS_25InMemoryDataOperationEnumE0ELi2ELNS_10TailNumberE10EEEvNT_8ArgumentE.private_seg_size, 0
	.set _ZN2ck27kernel_gemm_xdl_cshuffle_v3INS_28GridwiseGemm_xdl_cshuffle_v3INS_13tensor_layout4gemm8RowMajorENS3_11ColumnMajorES4_fffffNS_16tensor_operation12element_wise11PassThroughES8_S8_LNS6_6device18GemmSpecializationE0ELi128ELi64ELi64ELi64ELi4ELi4ELi16ELi16ELi2ELi4ENS_8SequenceIJLi4ELi32ELi1EEEENSB_IJLi1ELi0ELi2EEEESD_Li2ELi2ELi2ELb0ELi0ESC_SD_SD_Li2ELi2ELi2ELb0ELi0ELi1ELi2ENSB_IJLi1ELi32ELi1ELi4EEEELi2ELNS_26BlockGemmPipelineSchedulerE0ELNS_24BlockGemmPipelineVersionE2EffLb0ELb0ELb0ELi0ELb0EEELb1ELNS_25InMemoryDataOperationEnumE0ELi2ELNS_10TailNumberE10EEEvNT_8ArgumentE.uses_vcc, 0
	.set _ZN2ck27kernel_gemm_xdl_cshuffle_v3INS_28GridwiseGemm_xdl_cshuffle_v3INS_13tensor_layout4gemm8RowMajorENS3_11ColumnMajorES4_fffffNS_16tensor_operation12element_wise11PassThroughES8_S8_LNS6_6device18GemmSpecializationE0ELi128ELi64ELi64ELi64ELi4ELi4ELi16ELi16ELi2ELi4ENS_8SequenceIJLi4ELi32ELi1EEEENSB_IJLi1ELi0ELi2EEEESD_Li2ELi2ELi2ELb0ELi0ESC_SD_SD_Li2ELi2ELi2ELb0ELi0ELi1ELi2ENSB_IJLi1ELi32ELi1ELi4EEEELi2ELNS_26BlockGemmPipelineSchedulerE0ELNS_24BlockGemmPipelineVersionE2EffLb0ELb0ELb0ELi0ELb0EEELb1ELNS_25InMemoryDataOperationEnumE0ELi2ELNS_10TailNumberE10EEEvNT_8ArgumentE.uses_flat_scratch, 0
	.set _ZN2ck27kernel_gemm_xdl_cshuffle_v3INS_28GridwiseGemm_xdl_cshuffle_v3INS_13tensor_layout4gemm8RowMajorENS3_11ColumnMajorES4_fffffNS_16tensor_operation12element_wise11PassThroughES8_S8_LNS6_6device18GemmSpecializationE0ELi128ELi64ELi64ELi64ELi4ELi4ELi16ELi16ELi2ELi4ENS_8SequenceIJLi4ELi32ELi1EEEENSB_IJLi1ELi0ELi2EEEESD_Li2ELi2ELi2ELb0ELi0ESC_SD_SD_Li2ELi2ELi2ELb0ELi0ELi1ELi2ENSB_IJLi1ELi32ELi1ELi4EEEELi2ELNS_26BlockGemmPipelineSchedulerE0ELNS_24BlockGemmPipelineVersionE2EffLb0ELb0ELb0ELi0ELb0EEELb1ELNS_25InMemoryDataOperationEnumE0ELi2ELNS_10TailNumberE10EEEvNT_8ArgumentE.has_dyn_sized_stack, 0
	.set _ZN2ck27kernel_gemm_xdl_cshuffle_v3INS_28GridwiseGemm_xdl_cshuffle_v3INS_13tensor_layout4gemm8RowMajorENS3_11ColumnMajorES4_fffffNS_16tensor_operation12element_wise11PassThroughES8_S8_LNS6_6device18GemmSpecializationE0ELi128ELi64ELi64ELi64ELi4ELi4ELi16ELi16ELi2ELi4ENS_8SequenceIJLi4ELi32ELi1EEEENSB_IJLi1ELi0ELi2EEEESD_Li2ELi2ELi2ELb0ELi0ESC_SD_SD_Li2ELi2ELi2ELb0ELi0ELi1ELi2ENSB_IJLi1ELi32ELi1ELi4EEEELi2ELNS_26BlockGemmPipelineSchedulerE0ELNS_24BlockGemmPipelineVersionE2EffLb0ELb0ELb0ELi0ELb0EEELb1ELNS_25InMemoryDataOperationEnumE0ELi2ELNS_10TailNumberE10EEEvNT_8ArgumentE.has_recursion, 0
	.set _ZN2ck27kernel_gemm_xdl_cshuffle_v3INS_28GridwiseGemm_xdl_cshuffle_v3INS_13tensor_layout4gemm8RowMajorENS3_11ColumnMajorES4_fffffNS_16tensor_operation12element_wise11PassThroughES8_S8_LNS6_6device18GemmSpecializationE0ELi128ELi64ELi64ELi64ELi4ELi4ELi16ELi16ELi2ELi4ENS_8SequenceIJLi4ELi32ELi1EEEENSB_IJLi1ELi0ELi2EEEESD_Li2ELi2ELi2ELb0ELi0ESC_SD_SD_Li2ELi2ELi2ELb0ELi0ELi1ELi2ENSB_IJLi1ELi32ELi1ELi4EEEELi2ELNS_26BlockGemmPipelineSchedulerE0ELNS_24BlockGemmPipelineVersionE2EffLb0ELb0ELb0ELi0ELb0EEELb1ELNS_25InMemoryDataOperationEnumE0ELi2ELNS_10TailNumberE10EEEvNT_8ArgumentE.has_indirect_call, 0
	.section	.AMDGPU.csdata,"",@progbits
; Kernel info:
; codeLenInByte = 4
; TotalNumSgprs: 0
; NumVgprs: 0
; ScratchSize: 0
; MemoryBound: 0
; FloatMode: 240
; IeeeMode: 1
; LDSByteSize: 0 bytes/workgroup (compile time only)
; SGPRBlocks: 0
; VGPRBlocks: 0
; NumSGPRsForWavesPerEU: 1
; NumVGPRsForWavesPerEU: 1
; Occupancy: 16
; WaveLimiterHint : 0
; COMPUTE_PGM_RSRC2:SCRATCH_EN: 0
; COMPUTE_PGM_RSRC2:USER_SGPR: 2
; COMPUTE_PGM_RSRC2:TRAP_HANDLER: 0
; COMPUTE_PGM_RSRC2:TGID_X_EN: 1
; COMPUTE_PGM_RSRC2:TGID_Y_EN: 0
; COMPUTE_PGM_RSRC2:TGID_Z_EN: 0
; COMPUTE_PGM_RSRC2:TIDIG_COMP_CNT: 0
	.section	.text._ZN2ck27kernel_gemm_xdl_cshuffle_v3INS_28GridwiseGemm_xdl_cshuffle_v3INS_13tensor_layout4gemm8RowMajorENS3_11ColumnMajorES4_fffffNS_16tensor_operation12element_wise11PassThroughES8_S8_LNS6_6device18GemmSpecializationE0ELi128ELi64ELi64ELi64ELi4ELi4ELi16ELi16ELi2ELi2ENS_8SequenceIJLi4ELi32ELi1EEEENSB_IJLi1ELi0ELi2EEEESD_Li2ELi2ELi2ELb0ELi0ESC_SD_SD_Li2ELi2ELi2ELb0ELi0ELi1ELi2ENSB_IJLi1ELi32ELi1ELi4EEEELi2ELNS_26BlockGemmPipelineSchedulerE0ELNS_24BlockGemmPipelineVersionE2EffLb0ELb0ELb0ELi0ELb0EEELb1ELNS_25InMemoryDataOperationEnumE1ELi2ELNS_10TailNumberE10EEEvNT_8ArgumentE,"axG",@progbits,_ZN2ck27kernel_gemm_xdl_cshuffle_v3INS_28GridwiseGemm_xdl_cshuffle_v3INS_13tensor_layout4gemm8RowMajorENS3_11ColumnMajorES4_fffffNS_16tensor_operation12element_wise11PassThroughES8_S8_LNS6_6device18GemmSpecializationE0ELi128ELi64ELi64ELi64ELi4ELi4ELi16ELi16ELi2ELi2ENS_8SequenceIJLi4ELi32ELi1EEEENSB_IJLi1ELi0ELi2EEEESD_Li2ELi2ELi2ELb0ELi0ESC_SD_SD_Li2ELi2ELi2ELb0ELi0ELi1ELi2ENSB_IJLi1ELi32ELi1ELi4EEEELi2ELNS_26BlockGemmPipelineSchedulerE0ELNS_24BlockGemmPipelineVersionE2EffLb0ELb0ELb0ELi0ELb0EEELb1ELNS_25InMemoryDataOperationEnumE1ELi2ELNS_10TailNumberE10EEEvNT_8ArgumentE,comdat
	.protected	_ZN2ck27kernel_gemm_xdl_cshuffle_v3INS_28GridwiseGemm_xdl_cshuffle_v3INS_13tensor_layout4gemm8RowMajorENS3_11ColumnMajorES4_fffffNS_16tensor_operation12element_wise11PassThroughES8_S8_LNS6_6device18GemmSpecializationE0ELi128ELi64ELi64ELi64ELi4ELi4ELi16ELi16ELi2ELi2ENS_8SequenceIJLi4ELi32ELi1EEEENSB_IJLi1ELi0ELi2EEEESD_Li2ELi2ELi2ELb0ELi0ESC_SD_SD_Li2ELi2ELi2ELb0ELi0ELi1ELi2ENSB_IJLi1ELi32ELi1ELi4EEEELi2ELNS_26BlockGemmPipelineSchedulerE0ELNS_24BlockGemmPipelineVersionE2EffLb0ELb0ELb0ELi0ELb0EEELb1ELNS_25InMemoryDataOperationEnumE1ELi2ELNS_10TailNumberE10EEEvNT_8ArgumentE ; -- Begin function _ZN2ck27kernel_gemm_xdl_cshuffle_v3INS_28GridwiseGemm_xdl_cshuffle_v3INS_13tensor_layout4gemm8RowMajorENS3_11ColumnMajorES4_fffffNS_16tensor_operation12element_wise11PassThroughES8_S8_LNS6_6device18GemmSpecializationE0ELi128ELi64ELi64ELi64ELi4ELi4ELi16ELi16ELi2ELi2ENS_8SequenceIJLi4ELi32ELi1EEEENSB_IJLi1ELi0ELi2EEEESD_Li2ELi2ELi2ELb0ELi0ESC_SD_SD_Li2ELi2ELi2ELb0ELi0ELi1ELi2ENSB_IJLi1ELi32ELi1ELi4EEEELi2ELNS_26BlockGemmPipelineSchedulerE0ELNS_24BlockGemmPipelineVersionE2EffLb0ELb0ELb0ELi0ELb0EEELb1ELNS_25InMemoryDataOperationEnumE1ELi2ELNS_10TailNumberE10EEEvNT_8ArgumentE
	.globl	_ZN2ck27kernel_gemm_xdl_cshuffle_v3INS_28GridwiseGemm_xdl_cshuffle_v3INS_13tensor_layout4gemm8RowMajorENS3_11ColumnMajorES4_fffffNS_16tensor_operation12element_wise11PassThroughES8_S8_LNS6_6device18GemmSpecializationE0ELi128ELi64ELi64ELi64ELi4ELi4ELi16ELi16ELi2ELi2ENS_8SequenceIJLi4ELi32ELi1EEEENSB_IJLi1ELi0ELi2EEEESD_Li2ELi2ELi2ELb0ELi0ESC_SD_SD_Li2ELi2ELi2ELb0ELi0ELi1ELi2ENSB_IJLi1ELi32ELi1ELi4EEEELi2ELNS_26BlockGemmPipelineSchedulerE0ELNS_24BlockGemmPipelineVersionE2EffLb0ELb0ELb0ELi0ELb0EEELb1ELNS_25InMemoryDataOperationEnumE1ELi2ELNS_10TailNumberE10EEEvNT_8ArgumentE
	.p2align	8
	.type	_ZN2ck27kernel_gemm_xdl_cshuffle_v3INS_28GridwiseGemm_xdl_cshuffle_v3INS_13tensor_layout4gemm8RowMajorENS3_11ColumnMajorES4_fffffNS_16tensor_operation12element_wise11PassThroughES8_S8_LNS6_6device18GemmSpecializationE0ELi128ELi64ELi64ELi64ELi4ELi4ELi16ELi16ELi2ELi2ENS_8SequenceIJLi4ELi32ELi1EEEENSB_IJLi1ELi0ELi2EEEESD_Li2ELi2ELi2ELb0ELi0ESC_SD_SD_Li2ELi2ELi2ELb0ELi0ELi1ELi2ENSB_IJLi1ELi32ELi1ELi4EEEELi2ELNS_26BlockGemmPipelineSchedulerE0ELNS_24BlockGemmPipelineVersionE2EffLb0ELb0ELb0ELi0ELb0EEELb1ELNS_25InMemoryDataOperationEnumE1ELi2ELNS_10TailNumberE10EEEvNT_8ArgumentE,@function
_ZN2ck27kernel_gemm_xdl_cshuffle_v3INS_28GridwiseGemm_xdl_cshuffle_v3INS_13tensor_layout4gemm8RowMajorENS3_11ColumnMajorES4_fffffNS_16tensor_operation12element_wise11PassThroughES8_S8_LNS6_6device18GemmSpecializationE0ELi128ELi64ELi64ELi64ELi4ELi4ELi16ELi16ELi2ELi2ENS_8SequenceIJLi4ELi32ELi1EEEENSB_IJLi1ELi0ELi2EEEESD_Li2ELi2ELi2ELb0ELi0ESC_SD_SD_Li2ELi2ELi2ELb0ELi0ELi1ELi2ENSB_IJLi1ELi32ELi1ELi4EEEELi2ELNS_26BlockGemmPipelineSchedulerE0ELNS_24BlockGemmPipelineVersionE2EffLb0ELb0ELb0ELi0ELb0EEELb1ELNS_25InMemoryDataOperationEnumE1ELi2ELNS_10TailNumberE10EEEvNT_8ArgumentE: ; @_ZN2ck27kernel_gemm_xdl_cshuffle_v3INS_28GridwiseGemm_xdl_cshuffle_v3INS_13tensor_layout4gemm8RowMajorENS3_11ColumnMajorES4_fffffNS_16tensor_operation12element_wise11PassThroughES8_S8_LNS6_6device18GemmSpecializationE0ELi128ELi64ELi64ELi64ELi4ELi4ELi16ELi16ELi2ELi2ENS_8SequenceIJLi4ELi32ELi1EEEENSB_IJLi1ELi0ELi2EEEESD_Li2ELi2ELi2ELb0ELi0ESC_SD_SD_Li2ELi2ELi2ELb0ELi0ELi1ELi2ENSB_IJLi1ELi32ELi1ELi4EEEELi2ELNS_26BlockGemmPipelineSchedulerE0ELNS_24BlockGemmPipelineVersionE2EffLb0ELb0ELb0ELi0ELb0EEELb1ELNS_25InMemoryDataOperationEnumE1ELi2ELNS_10TailNumberE10EEEvNT_8ArgumentE
; %bb.0:
	s_clause 0x4
	s_load_b96 s[16:18], s[0:1], 0x20
	s_load_b96 s[12:14], s[0:1], 0x60
	s_load_b128 s[8:11], s[0:1], 0x10
	s_load_b32 s2, s[0:1], 0x3c
	s_load_b128 s[4:7], s[0:1], 0x50
	s_lshr_b32 s3, ttmp7, 16
	s_mov_b32 s23, ttmp9
	s_wait_kmcnt 0x0
	s_cmp_gt_i32 s18, 1
	s_cselect_b32 s15, -1, 0
	s_bitcmp1_b32 s14, 0
	s_cselect_b32 s14, -1, 0
	s_delay_alu instid0(SALU_CYCLE_1) | instskip(NEXT) | instid1(SALU_CYCLE_1)
	s_and_b32 s14, s15, s14
	s_and_not1_b32 vcc_lo, exec_lo, s14
	s_mov_b64 s[14:15], 0
	s_cbranch_vccnz .LBB3_2
; %bb.1:
	s_mul_i32 s14, s8, s3
	s_delay_alu instid0(SALU_CYCLE_1) | instskip(NEXT) | instid1(SALU_CYCLE_1)
	s_mul_i32 s14, s14, s9
	s_ashr_i32 s15, s14, 31
.LBB3_2:
	s_load_b32 s22, s[0:1], 0x34
	s_add_co_i32 s21, s8, -1
	s_mov_b32 s20, 0
	s_cmp_lt_u32 s21, 64
	s_cbranch_scc1 .LBB3_6
; %bb.3:
	s_add_co_i32 s0, s9, -1
	s_delay_alu instid0(SALU_CYCLE_1)
	s_cmp_lt_u32 s0, 64
	s_mov_b32 s0, 0
	s_cbranch_scc1 .LBB3_10
; %bb.4:
	s_add_co_i32 s0, s8, 63
	s_add_co_i32 s1, s9, 63
	s_ashr_i32 s19, s0, 31
	s_ashr_i32 s24, s1, 31
	s_lshr_b32 s19, s19, 26
	s_lshr_b32 s24, s24, 26
	s_add_co_i32 s0, s0, s19
	s_add_co_i32 s19, s1, s24
	s_ashr_i32 s1, s0, 6
	s_ashr_i32 s0, s19, 6
	;; [unrolled: 1-line block ×3, first 2 shown]
	s_mul_i32 s19, s0, s1
	s_delay_alu instid0(SALU_CYCLE_1) | instskip(NEXT) | instid1(SALU_CYCLE_1)
	s_add_co_i32 s24, s19, 7
	s_ashr_i32 s25, s24, 31
	s_delay_alu instid0(SALU_CYCLE_1) | instskip(NEXT) | instid1(SALU_CYCLE_1)
	s_lshr_b32 s25, s25, 29
	s_add_co_i32 s25, s24, s25
	s_lshr_b32 s24, s26, 29
	s_and_b32 s27, s25, -8
	s_add_co_i32 s26, s23, s24
	s_sub_co_i32 s24, s19, s27
	s_and_b32 s19, s26, -8
	s_add_co_i32 s24, s24, 8
	s_sub_co_i32 s23, s23, s19
	s_ashr_i32 s25, s25, 3
	s_cmp_gt_i32 s23, s24
	s_cbranch_scc1 .LBB3_7
; %bb.5:
	s_mul_i32 s19, s25, s23
	s_ashr_i32 s26, s26, 3
	s_cbranch_execz .LBB3_8
	s_branch .LBB3_9
.LBB3_6:
	s_mov_b32 s19, s20
	s_branch .LBB3_11
.LBB3_7:
                                        ; implicit-def: $sgpr19
	s_ashr_i32 s26, s26, 3
.LBB3_8:
	s_add_co_i32 s19, s25, -1
	s_delay_alu instid0(SALU_CYCLE_1) | instskip(NEXT) | instid1(SALU_CYCLE_1)
	s_mul_i32 s19, s19, s23
	s_add_co_i32 s19, s24, s19
.LBB3_9:
	s_abs_i32 s23, s0
	s_add_co_i32 s19, s19, s26
	s_cvt_f32_u32 s24, s23
	s_sub_co_i32 s25, 0, s23
	s_abs_i32 s26, s19
	s_delay_alu instid0(SALU_CYCLE_1) | instskip(NEXT) | instid1(TRANS32_DEP_1)
	v_rcp_iflag_f32_e32 v1, s24
	v_readfirstlane_b32 s24, v1
	s_mul_f32 s24, s24, 0x4f7ffffe
	s_wait_alu 0xfffe
	s_delay_alu instid0(SALU_CYCLE_2) | instskip(SKIP_1) | instid1(SALU_CYCLE_2)
	s_cvt_u32_f32 s24, s24
	s_wait_alu 0xfffe
	s_mul_i32 s25, s25, s24
	s_wait_alu 0xfffe
	s_mul_hi_u32 s25, s24, s25
	s_wait_alu 0xfffe
	s_add_co_i32 s24, s24, s25
	s_xor_b32 s25, s19, s0
	s_wait_alu 0xfffe
	s_mul_hi_u32 s24, s26, s24
	s_ashr_i32 s25, s25, 31
	s_wait_alu 0xfffe
	s_mul_i32 s27, s24, s23
	s_delay_alu instid0(SALU_CYCLE_1)
	s_sub_co_i32 s26, s26, s27
	s_add_co_i32 s27, s24, 1
	s_sub_co_i32 s28, s26, s23
	s_cmp_ge_u32 s26, s23
	s_cselect_b32 s24, s27, s24
	s_cselect_b32 s26, s28, s26
	s_wait_alu 0xfffe
	s_add_co_i32 s27, s24, 1
	s_cmp_ge_u32 s26, s23
	s_cselect_b32 s23, s27, s24
	s_lshr_b32 s24, s1, 30
	s_xor_b32 s23, s23, s25
	s_wait_alu 0xfffe
	s_add_co_i32 s24, s1, s24
	s_sub_co_i32 s23, s23, s25
	s_wait_alu 0xfffe
	s_and_b32 s24, s24, -4
	s_mul_i32 s25, s23, s0
	s_wait_alu 0xfffe
	s_sub_co_i32 s1, s1, s24
	s_sub_co_i32 s19, s19, s25
	s_cmp_ge_i32 s23, s24
	s_cselect_b32 s1, s1, 4
	s_ashr_i32 s26, s23, 31
	s_abs_i32 s24, s1
	s_lshr_b32 s26, s26, 30
	s_wait_alu 0xfffe
	s_cvt_f32_u32 s25, s24
	s_add_co_i32 s26, s23, s26
	s_sub_co_i32 s27, 0, s24
	s_and_b32 s26, s26, -4
	s_wait_alu 0xfffe
	v_rcp_iflag_f32_e32 v1, s25
	s_sub_co_i32 s26, s23, s26
	s_delay_alu instid0(SALU_CYCLE_1) | instskip(NEXT) | instid1(SALU_CYCLE_1)
	s_mul_i32 s0, s26, s0
	s_add_co_i32 s19, s0, s19
	s_delay_alu instid0(TRANS32_DEP_1) | instskip(SKIP_2) | instid1(SALU_CYCLE_2)
	v_readfirstlane_b32 s25, v1
	s_mul_f32 s25, s25, 0x4f7ffffe
	s_wait_alu 0xfffe
	s_cvt_u32_f32 s25, s25
	s_wait_alu 0xfffe
	s_delay_alu instid0(SALU_CYCLE_2) | instskip(NEXT) | instid1(SALU_CYCLE_1)
	s_mul_i32 s27, s27, s25
	s_mul_hi_u32 s0, s25, s27
	s_abs_i32 s27, s19
	s_add_co_i32 s25, s25, s0
	s_wait_alu 0xfffe
	s_mul_hi_u32 s0, s27, s25
	s_xor_b32 s25, s19, s1
	s_mul_i32 s28, s0, s24
	s_wait_alu 0xfffe
	s_ashr_i32 s25, s25, 31
	s_sub_co_i32 s27, s27, s28
	s_add_co_i32 s28, s0, 1
	s_sub_co_i32 s29, s27, s24
	s_cmp_ge_u32 s27, s24
	s_cselect_b32 s0, s28, s0
	s_cselect_b32 s27, s29, s27
	s_add_co_i32 s28, s0, 1
	s_cmp_ge_u32 s27, s24
	s_cselect_b32 s0, s28, s0
	s_wait_alu 0xfffe
	s_xor_b32 s0, s0, s25
	s_delay_alu instid0(SALU_CYCLE_1) | instskip(NEXT) | instid1(SALU_CYCLE_1)
	s_sub_co_i32 s0, s0, s25
	s_mul_i32 s1, s0, s1
	s_delay_alu instid0(SALU_CYCLE_1) | instskip(NEXT) | instid1(SALU_CYCLE_1)
	s_sub_co_i32 s1, s19, s1
	s_add_co_i32 s1, s1, s23
	s_delay_alu instid0(SALU_CYCLE_1)
	s_sub_co_i32 s23, s1, s26
.LBB3_10:
	s_delay_alu instid0(SALU_CYCLE_1)
	s_mov_b32 s19, s23
	s_mov_b32 s23, s0
.LBB3_11:
	s_wait_kmcnt 0x0
	s_mul_i32 s0, s22, s3
	v_lshrrev_b32_e32 v65, 1, v0
	s_ashr_i32 s1, s0, 31
	s_add_co_i32 s18, s18, -1
	s_lshl_b64 s[26:27], s[0:1], 2
	v_lshlrev_b32_e32 v1, 2, v0
	s_add_nc_u64 s[0:1], s[4:5], s[26:27]
	s_add_nc_u64 s[4:5], s[6:7], s[26:27]
	s_mul_i32 s6, s18, s22
	s_add_co_i32 s7, s9, 0x3fffffff
	s_sub_co_i32 s6, s10, s6
	v_and_b32_e32 v136, 62, v65
	s_cmp_lt_u32 s3, s18
	v_and_b32_e32 v66, 12, v1
	s_cselect_b32 s18, s22, s6
	s_lshl_b32 s10, s23, 6
	v_lshl_or_b32 v2, s19, 6, v136
	v_or_b32_e32 v1, s10, v136
	v_and_b32_e32 v71, 14, v65
	s_ashr_i32 s3, s2, 31
	s_mov_b32 s22, s16
	v_mul_lo_u32 v137, v2, s11
	v_mul_lo_u32 v138, v1, s16
	v_lshlrev_b32_e32 v2, 2, v66
	v_xor_b32_e32 v67, v71, v66
	v_lshlrev_b32_e32 v1, 6, v136
	s_mov_b32 s23, s20
	s_mov_b32 s6, s20
	s_lshr_b32 s3, s3, 28
	v_add_nc_u32_e32 v3, v137, v2
	v_add_nc_u32_e32 v21, v138, v2
	s_mov_b32 s24, s11
	s_mov_b32 s25, s20
	s_add_co_i32 s2, s2, s3
	s_mul_u64 s[6:7], s[6:7], s[22:23]
	s_wait_alu 0xfffe
	s_mul_u64 s[24:25], s[20:21], s[24:25]
	v_lshl_or_b32 v139, v67, 2, v1
	s_ashr_i32 s22, s2, 4
	; sched_barrier mask(0x00000000)
	v_add_nc_u32_e32 v1, 12, v3
	v_lshlrev_b32_e32 v13, 2, v3
	s_wait_alu 0xfffe
	s_add_co_i32 s2, s18, s25
	s_mov_b32 s3, 0x31004000
	s_lshl_b32 s2, s2, 2
	v_add_lshl_u32 v2, v1, s11, 2
	v_lshlrev_b32_e32 v1, 2, v1
	s_and_b32 s1, s1, 0xffff
	s_clause 0x3
	buffer_load_b128 v[72:75], v13, s[0:3], null offen
	buffer_load_b128 v[76:79], v13, s[0:3], null offen offset:16
	buffer_load_b128 v[80:83], v13, s[0:3], null offen offset:32
	buffer_load_b64 v[112:113], v13, s[0:3], null offen offset:56
	v_add_nc_u32_e32 v4, -8, v2
	v_add_nc_u32_e32 v5, -16, v2
	v_subrev_nc_u32_e32 v6, 32, v2
	v_subrev_nc_u32_e32 v7, 24, v2
	s_clause 0x5
	buffer_load_b64 v[114:115], v1, s[0:3], null offen
	buffer_load_b128 v[84:87], v2, s[0:3], null offen
	buffer_load_b64 v[116:117], v4, s[0:3], null offen
	buffer_load_b64 v[118:119], v5, s[0:3], null offen
	;; [unrolled: 1-line block ×4, first 2 shown]
	v_add_nc_u32_e32 v1, 12, v21
	v_add_nc_u32_e32 v9, 0x4c, v3
	s_add_co_i32 s18, s18, s7
	v_add_nc_u32_e32 v32, 0x4c, v21
	v_subrev_nc_u32_e32 v14, 40, v2
	v_lshlrev_b32_e32 v29, 2, v21
	v_lshlrev_b32_e32 v2, 2, v1
	v_add_lshl_u32 v1, v1, s16, 2
	v_add_lshl_u32 v22, v9, s11, 2
	s_wait_alu 0xfffe
	s_lshl_b32 s18, s18, 2
	s_and_b32 s5, s5, 0xffff
	s_wait_alu 0xfffe
	s_mov_b32 s6, s18
	s_mov_b32 s7, s3
	v_add_lshl_u32 v50, v32, s16, 2
	s_clause 0x5
	buffer_load_b128 v[88:91], v29, s[4:7], null offen
	buffer_load_b128 v[92:95], v29, s[4:7], null offen offset:16
	buffer_load_b128 v[96:99], v29, s[4:7], null offen offset:32
	buffer_load_b64 v[124:125], v29, s[4:7], null offen offset:56
	buffer_load_b64 v[126:127], v2, s[4:7], null offen
	buffer_load_b128 v[100:103], v1, s[4:7], null offen
	v_add_nc_u32_e32 v2, -8, v1
	v_subrev_nc_u32_e32 v30, 40, v1
	v_add_nc_u32_e32 v25, -16, v22
	v_add_lshl_u32 v17, v3, s11, 2
	v_add_nc_u32_e32 v4, -16, v1
	v_add_lshl_u32 v49, v21, s16, 2
	v_subrev_nc_u32_e32 v26, 32, v22
	v_subrev_nc_u32_e32 v5, 32, v1
	v_lshlrev_b32_e32 v18, 2, v9
	v_subrev_nc_u32_e32 v27, 24, v22
	v_lshlrev_b32_e32 v51, 2, v32
	v_subrev_nc_u32_e32 v6, 24, v1
	v_subrev_nc_u32_e32 v28, 40, v22
	v_add_nc_u32_e32 v23, -8, v22
	v_subrev_nc_u32_e32 v31, 48, v22
	v_add_nc_u32_e32 v52, -8, v50
	s_clause 0x3
	buffer_load_b64 v[128:129], v2, s[4:7], null offen
	buffer_load_b64 v[130:131], v4, s[4:7], null offen
	;; [unrolled: 1-line block ×4, first 2 shown]
	s_clause 0xd
	buffer_load_b128 v[1:4], v13, s[0:3], null offen offset:256
	buffer_load_b128 v[5:8], v13, s[0:3], null offen offset:272
	;; [unrolled: 1-line block ×3, first 2 shown]
	buffer_load_b64 v[15:16], v13, s[0:3], null offen offset:312
	buffer_load_b64 v[106:107], v14, s[0:3], null offen
	buffer_load_b64 v[104:105], v17, s[0:3], null offen
	buffer_load_b64 v[13:14], v18, s[0:3], null offen
	buffer_load_b128 v[17:20], v22, s[0:3], null offen
	buffer_load_b64 v[23:24], v23, s[0:3], null offen
	buffer_load_b64 v[21:22], v25, s[0:3], null offen
	buffer_load_b64 v[41:42], v26, s[0:3], null offen
	buffer_load_b64 v[43:44], v27, s[0:3], null offen
	buffer_load_b64 v[47:48], v28, s[0:3], null offen
	buffer_load_b64 v[45:46], v31, s[0:3], null offen
	s_clause 0x8
	buffer_load_b128 v[33:36], v29, s[4:7], null offen offset:256
	buffer_load_b128 v[25:28], v29, s[4:7], null offen offset:272
	;; [unrolled: 1-line block ×3, first 2 shown]
	buffer_load_b64 v[31:32], v29, s[4:7], null offen offset:312
	buffer_load_b64 v[110:111], v30, s[4:7], null offen
	buffer_load_b64 v[108:109], v49, s[4:7], null offen
	;; [unrolled: 1-line block ×3, first 2 shown]
	buffer_load_b128 v[53:56], v50, s[4:7], null offen
	buffer_load_b64 v[51:52], v52, s[4:7], null offen
	v_add_nc_u32_e32 v49, -16, v50
	v_subrev_nc_u32_e32 v57, 32, v50
	v_subrev_nc_u32_e32 v59, 24, v50
	;; [unrolled: 1-line block ×4, first 2 shown]
	s_clause 0x4
	buffer_load_b64 v[49:50], v49, s[4:7], null offen
	buffer_load_b64 v[57:58], v57, s[4:7], null offen
	;; [unrolled: 1-line block ×5, first 2 shown]
	v_or_b32_e32 v140, 1, v71
	v_or_b32_e32 v68, 1, v66
	v_lshlrev_b32_e32 v141, 2, v139
	v_or_b32_e32 v69, 2, v66
	s_delay_alu instid0(VALU_DEP_4) | instskip(NEXT) | instid1(VALU_DEP_4)
	v_xor_b32_e32 v70, v140, v66
	v_xor_b32_e32 v142, v140, v68
	;; [unrolled: 1-line block ×3, first 2 shown]
	s_delay_alu instid0(VALU_DEP_4)
	v_xor_b32_e32 v147, v69, v71
	v_xor_b32_e32 v149, v69, v140
	v_sub_nc_u32_e32 v143, v70, v67
	v_sub_nc_u32_e32 v145, v142, v70
	v_or_b32_e32 v70, 3, v66
	v_sub_nc_u32_e32 v142, v144, v142
	s_delay_alu instid0(VALU_DEP_4) | instskip(SKIP_1) | instid1(VALU_DEP_4)
	v_lshl_add_u32 v146, v143, 4, v141
	v_lshl_add_u32 v139, v143, 2, v139
	v_xor_b32_e32 v140, v140, v70
	v_sub_nc_u32_e32 v143, v147, v144
	v_xor_b32_e32 v71, v70, v71
	v_lshl_add_u32 v148, v145, 4, v146
	v_lshl_add_u32 v139, v145, 2, v139
	v_sub_nc_u32_e32 v145, v149, v147
	v_sub_nc_u32_e32 v147, v140, v149
	;; [unrolled: 1-line block ×3, first 2 shown]
	v_lshl_add_u32 v144, v142, 4, v148
	v_lshl_add_u32 v139, v142, 2, v139
	v_sub_nc_u32_e32 v71, v67, v71
	v_lshlrev_b32_e32 v142, 2, v145
	v_lshlrev_b32_e32 v150, 2, v147
	v_lshl_add_u32 v149, v143, 4, v144
	v_lshl_add_u32 v139, v143, 2, v139
	v_lshlrev_b32_e32 v143, 2, v140
	v_lshlrev_b32_e32 v71, 2, v71
	s_delay_alu instid0(VALU_DEP_4) | instskip(NEXT) | instid1(VALU_DEP_4)
	v_lshl_add_u32 v145, v145, 4, v149
	v_add3_u32 v139, v142, v139, v150
	v_add_nc_u32_e32 v142, 0x4100, v148
	v_add_nc_u32_e32 v150, 0x4000, v144
	v_add_nc_u32_e32 v151, 0x4000, v149
	v_lshl_add_u32 v147, v147, 4, v145
	v_add3_u32 v71, v139, v143, v71
	v_add_nc_u32_e32 v139, 0x4100, v145
	s_delay_alu instid0(VALU_DEP_3) | instskip(SKIP_1) | instid1(VALU_DEP_2)
	v_lshl_add_u32 v140, v140, 4, v147
	v_add_nc_u32_e32 v143, 0x4100, v147
	v_add_nc_u32_e32 v152, 0x4000, v140
	s_wait_loadcnt 0x2f
	ds_store_b128 v141, v[72:75]
	s_wait_loadcnt 0x16
	ds_store_b128 v146, v[104:107] offset:256
	ds_store_2addr_b64 v148, v[120:121], v[122:123] offset0:32 offset1:33
	ds_store_2addr_b64 v144, v[76:77], v[78:79] offset1:1
	ds_store_2addr_b64 v149, v[80:81], v[82:83] offset1:1
	ds_store_2addr_b64 v145, v[118:119], v[116:117] offset0:32 offset1:33
	ds_store_2addr_b64 v147, v[84:85], v[86:87] offset0:32 offset1:33
	ds_store_2addr_b64 v140, v[114:115], v[112:113] offset1:1
	ds_store_b128 v141, v[88:91] offset:16384
	s_wait_loadcnt 0x8
	ds_store_b128 v146, v[108:111] offset:16640
	ds_store_2addr_b64 v142, v[132:133], v[134:135] offset1:1
	ds_store_2addr_b64 v150, v[92:93], v[94:95] offset1:1
	;; [unrolled: 1-line block ×6, first 2 shown]
	s_wait_dscnt 0x0
	s_barrier_signal -1
	s_barrier_wait -1
	; sched_barrier mask(0x00000000)
	v_or_b32_e32 v72, 1, v65
	v_dual_mov_b32 v80, v71 :: v_dual_and_b32 v77, 3, v0
	v_add_lshl_u32 v73, v138, s16, 2
	v_lshlrev_b32_e32 v74, 2, v138
	s_delay_alu instid0(VALU_DEP_4)
	v_sub_nc_u32_e32 v79, v72, v136
	v_add_lshl_u32 v75, v137, s11, 2
	v_lshlrev_b32_e32 v76, 2, v137
	v_lshlrev_b32_e32 v77, 6, v77
	s_max_i32 s6, s22, 2
	v_lshlrev_b32_e32 v78, 6, v79
	v_add_nc_u32_e32 v79, -1, v79
	s_add_co_i32 s11, s6, -1
	s_mov_b32 s6, s18
.LBB3_12:                               ; =>This Inner Loop Header: Depth=1
	v_ashrrev_i32_e32 v82, 31, v72
	v_add_nc_u32_e32 v83, -1, v72
	v_lshlrev_b32_e32 v81, 2, v80
	v_lshlrev_b32_e32 v84, 2, v71
	s_wait_dscnt 0x0
	v_lshrrev_b32_e32 v82, 28, v82
	v_ashrrev_i32_e32 v89, 31, v83
	s_barrier_signal -1
	s_barrier_wait -1
	s_wait_loadcnt 0xf
	ds_store_2addr_b64 v81, v[1:2], v[3:4] offset1:1
	v_add_nc_u32_e32 v82, v72, v82
	v_lshrrev_b32_e32 v89, 28, v89
	v_add_nc_u32_e32 v90, 0x4000, v84
	v_add_nc_u32_e32 v85, v77, v76
	;; [unrolled: 1-line block ×3, first 2 shown]
	v_and_b32_e32 v82, -16, v82
	v_add_nc_u32_e32 v89, v83, v89
	v_add_nc_u32_e32 v87, v77, v74
	;; [unrolled: 1-line block ×3, first 2 shown]
	buffer_load_b128 v[1:4], v85, s[0:3], null offen offset:512
	v_sub_nc_u32_e32 v82, v72, v82
	v_and_b32_e32 v89, -16, v89
	; sched_group_barrier mask(0x00000020) size(1) SyncID(0)
	; sched_group_barrier mask(0x00000008) size(1) SyncID(0)
	s_delay_alu instid0(VALU_DEP_2) | instskip(SKIP_1) | instid1(VALU_DEP_3)
	v_xor_b32_e32 v91, v82, v66
	v_xor_b32_e32 v92, v82, v68
	v_sub_nc_u32_e32 v83, v83, v89
	v_xor_b32_e32 v89, v82, v69
	v_xor_b32_e32 v82, v82, v70
	v_sub_nc_u32_e32 v67, v91, v67
	v_sub_nc_u32_e32 v91, v92, v91
	v_xor_b32_e32 v93, v83, v68
	v_xor_b32_e32 v94, v83, v69
	v_sub_nc_u32_e32 v95, v82, v89
	v_lshl_add_u32 v97, v67, 2, v78
	v_lshlrev_b32_e32 v67, 4, v91
	v_sub_nc_u32_e32 v92, v93, v92
	v_sub_nc_u32_e32 v93, v94, v93
	;; [unrolled: 1-line block ×3, first 2 shown]
	v_lshlrev_b32_e32 v98, 2, v97
	v_xor_b32_e32 v96, v83, v70
	v_lshl_add_u32 v99, v92, 2, 0xffffffc0
	v_lshlrev_b32_e32 v100, 4, v93
	v_lshlrev_b32_e32 v101, 4, v89
	v_add_nc_u32_e32 v81, v81, v98
	v_add_nc_u32_e32 v84, v84, v98
	v_lshlrev_b32_e32 v94, 4, v95
	v_sub_nc_u32_e32 v82, v96, v82
	s_delay_alu instid0(VALU_DEP_4) | instskip(NEXT) | instid1(VALU_DEP_4)
	v_add_nc_u32_e32 v98, v81, v67
	v_add_nc_u32_e32 v67, v84, v67
	s_wait_loadcnt 0xc
	ds_store_2addr_b64 v81, v[45:46], v[47:48] offset1:1
	v_lshl_add_u32 v102, v82, 2, 0xffffffc0
	v_lshlrev_b32_e32 v82, 4, v82
	v_lshl_add_u32 v46, v99, 2, v98
	v_lshl_add_u32 v47, v92, 4, v67
	s_wait_loadcnt 0xb
	ds_store_2addr_b64 v98, v[41:42], v[43:44] offset1:1
	v_add_nc_u32_e32 v45, 0x4000, v84
	v_add_nc_u32_e32 v41, 0x4000, v67
	;; [unrolled: 1-line block ×4, first 2 shown]
	ds_store_2addr_b64 v46, v[5:6], v[7:8] offset1:1
	v_add_nc_u32_e32 v44, 0x3f00, v47
	buffer_load_b128 v[5:8], v85, s[0:3], null offen offset:528
	v_add_nc_u32_e32 v46, v42, v101
	ds_store_2addr_b64 v42, v[9:10], v[11:12] offset1:1
	v_add_nc_u32_e32 v42, 0x3f00, v43
	v_add_nc_u32_e32 v43, v43, v101
	buffer_load_b128 v[9:12], v85, s[0:3], null offen offset:544
	v_add3_u32 v47, 0x100, v46, v94
	s_wait_loadcnt 0xc
	ds_store_2addr_b64 v46, v[21:22], v[23:24] offset0:32 offset1:33
	v_lshlrev_b32_e32 v81, 2, v91
	v_add_nc_u32_e32 v21, v43, v94
	v_add_nc_u32_e32 v22, 0x4000, v43
	v_lshl_add_u32 v23, v102, 2, v47
	s_wait_loadcnt 0xb
	ds_store_2addr_b64 v47, v[17:18], v[19:20] offset1:1
	v_xor_b32_e32 v67, v83, v66
	v_add_nc_u32_e32 v17, 0x4000, v21
	v_add3_u32 v18, v21, v82, 0x3f00
	ds_store_2addr_b64 v23, v[13:14], v[15:16] offset1:1
	s_wait_loadcnt 0xa
	ds_store_2addr_b64 v90, v[33:34], v[35:36] offset1:1
	s_wait_loadcnt 0x3
	ds_store_2addr_b64 v45, v[61:62], v[63:64] offset1:1
	ds_store_2addr_b64 v41, v[57:58], v[59:60] offset1:1
	;; [unrolled: 1-line block ×7, first 2 shown]
	s_clause 0x4
	buffer_load_b128 v[13:16], v85, s[0:3], null offen offset:560
	buffer_load_b128 v[45:48], v86, s[0:3], null offen offset:512
	;; [unrolled: 1-line block ×5, first 2 shown]
	s_clause 0x7
	buffer_load_b128 v[33:36], v87, s[4:7], null offen offset:512
	buffer_load_b128 v[25:28], v87, s[4:7], null offen offset:528
	;; [unrolled: 1-line block ×8, first 2 shown]
	v_add3_u32 v80, v80, v97, v81
	v_lshlrev_b32_e32 v82, 2, v93
	v_add3_u32 v71, v97, v71, v81
	v_lshlrev_b32_e32 v81, 2, v95
	v_sub_nc_u32_e32 v83, v67, v96
	v_lshl_add_u32 v84, v89, 2, 64
	v_add3_u32 v80, v80, v99, v82
	v_add3_u32 v71, v71, v99, v82
	; sched_group_barrier mask(0x00000020) size(1) SyncID(0)
	; sched_group_barrier mask(0x00000008) size(1) SyncID(0)
	;; [unrolled: 1-line block ×4, first 2 shown]
	s_wait_dscnt 0x0
	v_lshlrev_b32_e32 v82, 2, v83
	s_barrier_signal -1
	v_add3_u32 v80, v80, v84, v81
	v_add3_u32 v71, v71, v84, v81
	s_barrier_wait -1
	; sched_group_barrier mask(0x00000020) size(1) SyncID(0)
	; sched_group_barrier mask(0x00000008) size(1) SyncID(0)
	; sched_group_barrier mask(0x00000020) size(1) SyncID(0)
	; sched_group_barrier mask(0x00000008) size(1) SyncID(0)
	; sched_group_barrier mask(0x00000020) size(1) SyncID(0)
	; sched_group_barrier mask(0x00000008) size(1) SyncID(0)
	; sched_group_barrier mask(0x00000020) size(1) SyncID(0)
	; sched_group_barrier mask(0x00000008) size(1) SyncID(0)
	; sched_group_barrier mask(0x00000020) size(1) SyncID(0)
	; sched_group_barrier mask(0x00000008) size(1) SyncID(0)
	; sched_group_barrier mask(0x00000020) size(1) SyncID(0)
	; sched_group_barrier mask(0x00000008) size(1) SyncID(0)
	; sched_group_barrier mask(0x00000020) size(1) SyncID(0)
	; sched_group_barrier mask(0x00000008) size(1) SyncID(0)
	; sched_group_barrier mask(0x00000020) size(1) SyncID(0)
	; sched_group_barrier mask(0x00000008) size(1) SyncID(0)
	; sched_group_barrier mask(0x00000020) size(1) SyncID(0)
	; sched_group_barrier mask(0x00000008) size(1) SyncID(0)
	; sched_group_barrier mask(0x00000020) size(1) SyncID(0)
	; sched_group_barrier mask(0x00000008) size(1) SyncID(0)
	; sched_group_barrier mask(0x00000020) size(1) SyncID(0)
	; sched_group_barrier mask(0x00000008) size(1) SyncID(0)
	; sched_group_barrier mask(0x00000020) size(1) SyncID(0)
	; sched_group_barrier mask(0x00000008) size(1) SyncID(0)
	; sched_group_barrier mask(0x00000020) size(1) SyncID(0)
	; sched_group_barrier mask(0x00000008) size(1) SyncID(0)
	; sched_group_barrier mask(0x00000020) size(1) SyncID(0)
	; sched_group_barrier mask(0x00000008) size(1) SyncID(0)
	; sched_group_barrier mask(0x00000020) size(1) SyncID(0)
	; sched_group_barrier mask(0x00000008) size(1) SyncID(0)
	; sched_group_barrier mask(0x00000020) size(1) SyncID(0)
	; sched_group_barrier mask(0x00000008) size(1) SyncID(0)
	; sched_group_barrier mask(0x00000020) size(1) SyncID(0)
	; sched_group_barrier mask(0x00000008) size(1) SyncID(0)
	; sched_group_barrier mask(0x00000020) size(1) SyncID(0)
	; sched_group_barrier mask(0x00000008) size(1) SyncID(0)
	; sched_group_barrier mask(0x00000020) size(1) SyncID(0)
	; sched_group_barrier mask(0x00000008) size(1) SyncID(0)
	; sched_group_barrier mask(0x00000020) size(1) SyncID(0)
	; sched_group_barrier mask(0x00000008) size(1) SyncID(0)
	; sched_group_barrier mask(0x00000020) size(1) SyncID(0)
	; sched_group_barrier mask(0x00000008) size(1) SyncID(0)
	; sched_group_barrier mask(0x00000020) size(1) SyncID(0)
	; sched_group_barrier mask(0x00000008) size(1) SyncID(0)
	; sched_group_barrier mask(0x00000020) size(1) SyncID(0)
	; sched_group_barrier mask(0x00000008) size(1) SyncID(0)
	; sched_group_barrier mask(0x00000020) size(1) SyncID(0)
	; sched_group_barrier mask(0x00000008) size(1) SyncID(0)
	; sched_group_barrier mask(0x00000020) size(1) SyncID(0)
	; sched_group_barrier mask(0x00000008) size(1) SyncID(0)
	; sched_group_barrier mask(0x00000020) size(1) SyncID(0)
	; sched_group_barrier mask(0x00000008) size(1) SyncID(0)
	; sched_group_barrier mask(0x00000020) size(1) SyncID(0)
	; sched_group_barrier mask(0x00000008) size(1) SyncID(0)
	; sched_group_barrier mask(0x00000020) size(1) SyncID(0)
	; sched_group_barrier mask(0x00000008) size(1) SyncID(0)
	; sched_group_barrier mask(0x00000020) size(1) SyncID(0)
	; sched_group_barrier mask(0x00000008) size(1) SyncID(0)
	; sched_group_barrier mask(0x00000100) size(1) SyncID(0)
	; sched_group_barrier mask(0x00000008) size(1) SyncID(0)
	; sched_group_barrier mask(0x00000100) size(1) SyncID(0)
	; sched_group_barrier mask(0x00000008) size(1) SyncID(0)
	; sched_group_barrier mask(0x00000100) size(1) SyncID(0)
	; sched_group_barrier mask(0x00000008) size(1) SyncID(0)
	; sched_group_barrier mask(0x00000100) size(1) SyncID(0)
	; sched_group_barrier mask(0x00000008) size(1) SyncID(0)
	; sched_group_barrier mask(0x00000100) size(1) SyncID(0)
	; sched_group_barrier mask(0x00000008) size(1) SyncID(0)
	; sched_group_barrier mask(0x00000100) size(1) SyncID(0)
	; sched_group_barrier mask(0x00000008) size(1) SyncID(0)
	; sched_group_barrier mask(0x00000100) size(1) SyncID(0)
	; sched_group_barrier mask(0x00000008) size(1) SyncID(0)
	; sched_group_barrier mask(0x00000100) size(1) SyncID(0)
	; sched_group_barrier mask(0x00000008) size(1) SyncID(0)
	; sched_group_barrier mask(0x00000100) size(1) SyncID(0)
	; sched_group_barrier mask(0x00000008) size(1) SyncID(0)
	; sched_group_barrier mask(0x00000100) size(1) SyncID(0)
	; sched_group_barrier mask(0x00000008) size(1) SyncID(0)
	; sched_group_barrier mask(0x00000100) size(1) SyncID(0)
	; sched_group_barrier mask(0x00000008) size(1) SyncID(0)
	; sched_group_barrier mask(0x00000100) size(1) SyncID(0)
	; sched_group_barrier mask(0x00000008) size(1) SyncID(0)
	; sched_group_barrier mask(0x00000100) size(1) SyncID(0)
	; sched_group_barrier mask(0x00000008) size(1) SyncID(0)
	; sched_group_barrier mask(0x00000100) size(1) SyncID(0)
	; sched_group_barrier mask(0x00000008) size(1) SyncID(0)
	; sched_group_barrier mask(0x00000100) size(1) SyncID(0)
	; sched_group_barrier mask(0x00000008) size(1) SyncID(0)
	; sched_group_barrier mask(0x00000100) size(1) SyncID(0)
	; sched_group_barrier mask(0x00000008) size(1) SyncID(0)
	; sched_group_barrier mask(0x00000100) size(1) SyncID(0)
	; sched_group_barrier mask(0x00000008) size(1) SyncID(0)
	; sched_group_barrier mask(0x00000100) size(1) SyncID(0)
	; sched_group_barrier mask(0x00000008) size(1) SyncID(0)
	; sched_group_barrier mask(0x00000100) size(1) SyncID(0)
	; sched_group_barrier mask(0x00000008) size(1) SyncID(0)
	; sched_group_barrier mask(0x00000100) size(1) SyncID(0)
	; sched_group_barrier mask(0x00000008) size(1) SyncID(0)
	; sched_group_barrier mask(0x00000100) size(1) SyncID(0)
	; sched_group_barrier mask(0x00000008) size(1) SyncID(0)
	; sched_group_barrier mask(0x00000100) size(1) SyncID(0)
	; sched_group_barrier mask(0x00000008) size(1) SyncID(0)
	; sched_group_barrier mask(0x00000100) size(1) SyncID(0)
	; sched_group_barrier mask(0x00000008) size(1) SyncID(0)
	; sched_group_barrier mask(0x00000100) size(1) SyncID(0)
	; sched_group_barrier mask(0x00000008) size(1) SyncID(0)
	; sched_group_barrier mask(0x00000100) size(1) SyncID(0)
	; sched_group_barrier mask(0x00000008) size(1) SyncID(0)
	; sched_group_barrier mask(0x00000100) size(1) SyncID(0)
	; sched_group_barrier mask(0x00000008) size(1) SyncID(0)
	; sched_group_barrier mask(0x00000100) size(1) SyncID(0)
	; sched_group_barrier mask(0x00000008) size(1) SyncID(0)
	; sched_group_barrier mask(0x00000100) size(1) SyncID(0)
	; sched_group_barrier mask(0x00000008) size(1) SyncID(0)
	; sched_group_barrier mask(0x00000100) size(1) SyncID(0)
	; sched_group_barrier mask(0x00000008) size(1) SyncID(0)
	; sched_group_barrier mask(0x00000100) size(1) SyncID(0)
	; sched_group_barrier mask(0x00000008) size(1) SyncID(0)
	; sched_group_barrier mask(0x00000100) size(1) SyncID(0)
	; sched_group_barrier mask(0x00000008) size(1) SyncID(0)
	; sched_group_barrier mask(0x00000100) size(1) SyncID(0)
	; sched_group_barrier mask(0x00000008) size(1) SyncID(0)
	s_delay_alu instid0(VALU_DEP_2) | instskip(NEXT) | instid1(VALU_DEP_2)
	v_add3_u32 v80, v80, v102, v82
	v_add3_u32 v71, v71, v102, v82
	; sched_barrier mask(0x00000000)
	v_add_nc_u32_e32 v72, v72, v79
	v_add_nc_u32_e32 v73, 0x100, v73
	;; [unrolled: 1-line block ×5, first 2 shown]
	s_add_co_i32 s11, s11, -1
	s_wait_alu 0xfffe
	s_cmp_lg_u32 s11, 0
	s_cbranch_scc1 .LBB3_12
; %bb.13:
	s_wait_loadcnt 0xf
	v_lshlrev_b32_e32 v1, 4, v0
	v_lshrrev_b32_e32 v4, 2, v0
	v_and_b32_e32 v0, 15, v0
	s_mov_b32 s1, 0
	s_mov_b32 s0, s17
	s_wait_loadcnt 0xe
	v_and_b32_e32 v5, 48, v1
	v_and_b32_e32 v1, 24, v65
	v_and_or_b32 v0, v4, 16, v0
	s_mul_u64 s[4:5], s[20:21], s[0:1]
	s_mov_b32 s0, s1
	v_or_b32_e32 v7, s10, v5
	v_lshlrev_b32_e32 v1, 2, v1
	v_lshlrev_b32_e32 v5, 2, v5
	s_mov_b32 s2, s1
	s_mov_b32 s3, s1
	v_lshl_or_b32 v6, s19, 6, v4
	s_wait_loadcnt 0xd
	v_lshl_or_b32 v9, v0, 8, v1
	v_dual_mov_b32 v0, s0 :: v_dual_mov_b32 v1, s1
	v_dual_mov_b32 v2, s2 :: v_dual_mov_b32 v3, s3
	v_lshl_or_b32 v10, v4, 8, v5
	s_wait_dscnt 0x0
	s_barrier_signal -1
	s_barrier_wait -1
	ds_store_b128 v9, v[0:3]
	ds_store_b128 v9, v[0:3] offset:16
	ds_store_b128 v9, v[0:3] offset:144
	;; [unrolled: 1-line block ×3, first 2 shown]
	s_wait_dscnt 0x0
	s_barrier_signal -1
	s_barrier_wait -1
	ds_load_b64 v[4:5], v10
	v_mul_lo_u32 v8, v6, s17
	v_cmp_gt_i32_e32 vcc_lo, s9, v7
	v_cmp_gt_i32_e64 s0, s8, v6
	s_lshl_b64 s[2:3], s[14:15], 2
	s_mov_b32 s15, 0x31004000
	s_wait_alu 0xfffe
	s_add_nc_u64 s[12:13], s[12:13], s[2:3]
	s_mov_b32 s10, 4
	s_and_b32 s1, s0, vcc_lo
	v_add_lshl_u32 v8, v8, v7, 2
	s_wait_alu 0xfffe
	v_cndmask_b32_e64 v11, 0x80000000, 0, s1
	s_add_co_i32 s1, s9, s5
	v_or_b32_e32 v12, 4, v7
	s_wait_alu 0xfffe
	s_lshl_b32 s14, s1, 2
	v_or_b32_e32 v6, 32, v6
	v_add_nc_u32_e32 v11, v11, v8
	s_wait_dscnt 0x0
	s_clause 0x1
	buffer_atomic_add_f32 v4, v11, s[12:15], null offen
	buffer_atomic_add_f32 v5, v11, s[12:15], s10 offen
	v_or_b32_e32 v11, 2, v7
	ds_load_b64 v[4:5], v10 offset:8
	v_cmp_gt_i32_e64 s1, s9, v11
	s_and_b32 s2, s0, s1
	s_wait_alu 0xfffe
	v_cndmask_b32_e64 v11, 0x80000000, 0, s2
	v_cmp_gt_i32_e64 s2, s9, v12
	v_or_b32_e32 v12, 6, v7
	s_delay_alu instid0(VALU_DEP_3)
	v_add_nc_u32_e32 v11, v8, v11
	s_wait_dscnt 0x0
	s_clause 0x1
	buffer_atomic_add_f32 v4, v11, s[12:15], null offen offset:8
	buffer_atomic_add_f32 v5, v11, s[12:15], s10 offen offset:8
	ds_load_b64 v[4:5], v10 offset:16
	s_and_b32 s3, s0, s2
	s_wait_alu 0xfffe
	v_cndmask_b32_e64 v11, 0x80000000, 0, s3
	v_cmp_gt_i32_e64 s3, s9, v12
	v_or_b32_e32 v12, 8, v7
	s_delay_alu instid0(VALU_DEP_3)
	v_add_nc_u32_e32 v11, v8, v11
	s_and_b32 s4, s0, s3
	s_wait_dscnt 0x0
	s_clause 0x1
	buffer_atomic_add_f32 v4, v11, s[12:15], null offen offset:16
	buffer_atomic_add_f32 v5, v11, s[12:15], s10 offen offset:16
	ds_load_b64 v[4:5], v10 offset:24
	v_cndmask_b32_e64 v11, 0x80000000, 0, s4
	v_cmp_gt_i32_e64 s4, s9, v12
	v_or_b32_e32 v12, 10, v7
	s_delay_alu instid0(VALU_DEP_3)
	v_add_nc_u32_e32 v11, v8, v11
	s_and_b32 s5, s0, s4
	s_wait_dscnt 0x0
	s_clause 0x1
	buffer_atomic_add_f32 v4, v11, s[12:15], null offen offset:24
	buffer_atomic_add_f32 v5, v11, s[12:15], s10 offen offset:24
	ds_load_b64 v[4:5], v10 offset:32
	v_cndmask_b32_e64 v11, 0x80000000, 0, s5
	v_cmp_gt_i32_e64 s5, s9, v12
	v_or_b32_e32 v12, 12, v7
	v_or_b32_e32 v7, 14, v7
	s_delay_alu instid0(VALU_DEP_4)
	v_add_nc_u32_e32 v11, v8, v11
	s_and_b32 s6, s0, s5
	s_wait_dscnt 0x0
	s_clause 0x1
	buffer_atomic_add_f32 v4, v11, s[12:15], null offen offset:32
	buffer_atomic_add_f32 v5, v11, s[12:15], s10 offen offset:32
	ds_load_b64 v[4:5], v10 offset:40
	v_cndmask_b32_e64 v11, 0x80000000, 0, s6
	v_cmp_gt_i32_e64 s6, s9, v12
	s_delay_alu instid0(VALU_DEP_2)
	v_add_nc_u32_e32 v11, v8, v11
	s_and_b32 s7, s0, s6
	s_wait_dscnt 0x0
	s_clause 0x1
	buffer_atomic_add_f32 v4, v11, s[12:15], null offen offset:40
	buffer_atomic_add_f32 v5, v11, s[12:15], s10 offen offset:40
	ds_load_b64 v[4:5], v10 offset:48
	v_cndmask_b32_e64 v11, 0x80000000, 0, s7
	v_cmp_gt_i32_e64 s7, s9, v7
	s_delay_alu instid0(VALU_DEP_2)
	;; [unrolled: 10-line block ×3, first 2 shown]
	v_add_nc_u32_e32 v7, v8, v7
	s_and_b32 s8, vcc_lo, s0
	s_and_b32 s1, s0, s1
	s_wait_dscnt 0x0
	s_clause 0x1
	buffer_atomic_add_f32 v4, v7, s[12:15], null offen offset:56
	buffer_atomic_add_f32 v5, v7, s[12:15], s10 offen offset:56
	s_wait_dscnt 0x0
	s_barrier_signal -1
	s_barrier_wait -1
	ds_store_b128 v9, v[0:3]
	ds_store_b128 v9, v[0:3] offset:16
	ds_store_b128 v9, v[0:3] offset:144
	;; [unrolled: 1-line block ×3, first 2 shown]
	s_wait_dscnt 0x0
	s_barrier_signal -1
	s_barrier_wait -1
	ds_load_b64 v[0:1], v10
	v_lshl_add_u32 v2, s17, 7, v8
	v_cndmask_b32_e64 v3, 0x80000000, 0, s8
	s_delay_alu instid0(VALU_DEP_1)
	v_add_nc_u32_e32 v3, v3, v2
	s_wait_dscnt 0x0
	s_clause 0x1
	buffer_atomic_add_f32 v0, v3, s[12:15], null offen
	buffer_atomic_add_f32 v1, v3, s[12:15], s10 offen
	ds_load_b64 v[0:1], v10 offset:8
	v_cndmask_b32_e64 v3, 0x80000000, 0, s1
	s_and_b32 s1, s0, s2
	s_delay_alu instid0(VALU_DEP_1)
	v_add_nc_u32_e32 v3, v2, v3
	s_wait_dscnt 0x0
	s_clause 0x1
	buffer_atomic_add_f32 v0, v3, s[12:15], null offen offset:8
	buffer_atomic_add_f32 v1, v3, s[12:15], s10 offen offset:8
	ds_load_b64 v[0:1], v10 offset:16
	v_cndmask_b32_e64 v3, 0x80000000, 0, s1
	s_and_b32 s1, s0, s3
	s_delay_alu instid0(VALU_DEP_1)
	v_add_nc_u32_e32 v3, v2, v3
	s_wait_dscnt 0x0
	s_clause 0x1
	buffer_atomic_add_f32 v0, v3, s[12:15], null offen offset:16
	buffer_atomic_add_f32 v1, v3, s[12:15], s10 offen offset:16
	;; [unrolled: 9-line block ×4, first 2 shown]
	ds_load_b64 v[0:1], v10 offset:40
	v_cndmask_b32_e64 v3, 0x80000000, 0, s1
	s_and_b32 s1, s0, s6
	s_and_b32 s0, s0, s7
	s_delay_alu instid0(VALU_DEP_1)
	v_add_nc_u32_e32 v3, v2, v3
	s_wait_dscnt 0x0
	s_clause 0x1
	buffer_atomic_add_f32 v0, v3, s[12:15], null offen offset:40
	buffer_atomic_add_f32 v1, v3, s[12:15], s10 offen offset:40
	ds_load_b64 v[0:1], v10 offset:48
	v_cndmask_b32_e64 v3, 0x80000000, 0, s1
	s_delay_alu instid0(VALU_DEP_1)
	v_add_nc_u32_e32 v3, v2, v3
	s_wait_dscnt 0x0
	s_clause 0x1
	buffer_atomic_add_f32 v0, v3, s[12:15], null offen offset:48
	buffer_atomic_add_f32 v1, v3, s[12:15], s10 offen offset:48
	ds_load_b64 v[0:1], v10 offset:56
	v_cndmask_b32_e64 v3, 0x80000000, 0, s0
	s_delay_alu instid0(VALU_DEP_1)
	v_add_nc_u32_e32 v2, v2, v3
	s_wait_dscnt 0x0
	s_clause 0x1
	buffer_atomic_add_f32 v0, v2, s[12:15], null offen offset:56
	buffer_atomic_add_f32 v1, v2, s[12:15], s10 offen offset:56
	s_nop 0
	s_sendmsg sendmsg(MSG_DEALLOC_VGPRS)
	s_endpgm
	.section	.rodata,"a",@progbits
	.p2align	6, 0x0
	.amdhsa_kernel _ZN2ck27kernel_gemm_xdl_cshuffle_v3INS_28GridwiseGemm_xdl_cshuffle_v3INS_13tensor_layout4gemm8RowMajorENS3_11ColumnMajorES4_fffffNS_16tensor_operation12element_wise11PassThroughES8_S8_LNS6_6device18GemmSpecializationE0ELi128ELi64ELi64ELi64ELi4ELi4ELi16ELi16ELi2ELi2ENS_8SequenceIJLi4ELi32ELi1EEEENSB_IJLi1ELi0ELi2EEEESD_Li2ELi2ELi2ELb0ELi0ESC_SD_SD_Li2ELi2ELi2ELb0ELi0ELi1ELi2ENSB_IJLi1ELi32ELi1ELi4EEEELi2ELNS_26BlockGemmPipelineSchedulerE0ELNS_24BlockGemmPipelineVersionE2EffLb0ELb0ELb0ELi0ELb0EEELb1ELNS_25InMemoryDataOperationEnumE1ELi2ELNS_10TailNumberE10EEEvNT_8ArgumentE
		.amdhsa_group_segment_fixed_size 32768
		.amdhsa_private_segment_fixed_size 0
		.amdhsa_kernarg_size 112
		.amdhsa_user_sgpr_count 2
		.amdhsa_user_sgpr_dispatch_ptr 0
		.amdhsa_user_sgpr_queue_ptr 0
		.amdhsa_user_sgpr_kernarg_segment_ptr 1
		.amdhsa_user_sgpr_dispatch_id 0
		.amdhsa_user_sgpr_private_segment_size 0
		.amdhsa_wavefront_size32 1
		.amdhsa_uses_dynamic_stack 0
		.amdhsa_enable_private_segment 0
		.amdhsa_system_sgpr_workgroup_id_x 1
		.amdhsa_system_sgpr_workgroup_id_y 0
		.amdhsa_system_sgpr_workgroup_id_z 1
		.amdhsa_system_sgpr_workgroup_info 0
		.amdhsa_system_vgpr_workitem_id 0
		.amdhsa_next_free_vgpr 241
		.amdhsa_next_free_sgpr 30
		.amdhsa_reserve_vcc 1
		.amdhsa_float_round_mode_32 0
		.amdhsa_float_round_mode_16_64 0
		.amdhsa_float_denorm_mode_32 3
		.amdhsa_float_denorm_mode_16_64 3
		.amdhsa_fp16_overflow 0
		.amdhsa_workgroup_processor_mode 1
		.amdhsa_memory_ordered 1
		.amdhsa_forward_progress 1
		.amdhsa_inst_pref_size 36
		.amdhsa_round_robin_scheduling 0
		.amdhsa_exception_fp_ieee_invalid_op 0
		.amdhsa_exception_fp_denorm_src 0
		.amdhsa_exception_fp_ieee_div_zero 0
		.amdhsa_exception_fp_ieee_overflow 0
		.amdhsa_exception_fp_ieee_underflow 0
		.amdhsa_exception_fp_ieee_inexact 0
		.amdhsa_exception_int_div_zero 0
	.end_amdhsa_kernel
	.section	.text._ZN2ck27kernel_gemm_xdl_cshuffle_v3INS_28GridwiseGemm_xdl_cshuffle_v3INS_13tensor_layout4gemm8RowMajorENS3_11ColumnMajorES4_fffffNS_16tensor_operation12element_wise11PassThroughES8_S8_LNS6_6device18GemmSpecializationE0ELi128ELi64ELi64ELi64ELi4ELi4ELi16ELi16ELi2ELi2ENS_8SequenceIJLi4ELi32ELi1EEEENSB_IJLi1ELi0ELi2EEEESD_Li2ELi2ELi2ELb0ELi0ESC_SD_SD_Li2ELi2ELi2ELb0ELi0ELi1ELi2ENSB_IJLi1ELi32ELi1ELi4EEEELi2ELNS_26BlockGemmPipelineSchedulerE0ELNS_24BlockGemmPipelineVersionE2EffLb0ELb0ELb0ELi0ELb0EEELb1ELNS_25InMemoryDataOperationEnumE1ELi2ELNS_10TailNumberE10EEEvNT_8ArgumentE,"axG",@progbits,_ZN2ck27kernel_gemm_xdl_cshuffle_v3INS_28GridwiseGemm_xdl_cshuffle_v3INS_13tensor_layout4gemm8RowMajorENS3_11ColumnMajorES4_fffffNS_16tensor_operation12element_wise11PassThroughES8_S8_LNS6_6device18GemmSpecializationE0ELi128ELi64ELi64ELi64ELi4ELi4ELi16ELi16ELi2ELi2ENS_8SequenceIJLi4ELi32ELi1EEEENSB_IJLi1ELi0ELi2EEEESD_Li2ELi2ELi2ELb0ELi0ESC_SD_SD_Li2ELi2ELi2ELb0ELi0ELi1ELi2ENSB_IJLi1ELi32ELi1ELi4EEEELi2ELNS_26BlockGemmPipelineSchedulerE0ELNS_24BlockGemmPipelineVersionE2EffLb0ELb0ELb0ELi0ELb0EEELb1ELNS_25InMemoryDataOperationEnumE1ELi2ELNS_10TailNumberE10EEEvNT_8ArgumentE,comdat
.Lfunc_end3:
	.size	_ZN2ck27kernel_gemm_xdl_cshuffle_v3INS_28GridwiseGemm_xdl_cshuffle_v3INS_13tensor_layout4gemm8RowMajorENS3_11ColumnMajorES4_fffffNS_16tensor_operation12element_wise11PassThroughES8_S8_LNS6_6device18GemmSpecializationE0ELi128ELi64ELi64ELi64ELi4ELi4ELi16ELi16ELi2ELi2ENS_8SequenceIJLi4ELi32ELi1EEEENSB_IJLi1ELi0ELi2EEEESD_Li2ELi2ELi2ELb0ELi0ESC_SD_SD_Li2ELi2ELi2ELb0ELi0ELi1ELi2ENSB_IJLi1ELi32ELi1ELi4EEEELi2ELNS_26BlockGemmPipelineSchedulerE0ELNS_24BlockGemmPipelineVersionE2EffLb0ELb0ELb0ELi0ELb0EEELb1ELNS_25InMemoryDataOperationEnumE1ELi2ELNS_10TailNumberE10EEEvNT_8ArgumentE, .Lfunc_end3-_ZN2ck27kernel_gemm_xdl_cshuffle_v3INS_28GridwiseGemm_xdl_cshuffle_v3INS_13tensor_layout4gemm8RowMajorENS3_11ColumnMajorES4_fffffNS_16tensor_operation12element_wise11PassThroughES8_S8_LNS6_6device18GemmSpecializationE0ELi128ELi64ELi64ELi64ELi4ELi4ELi16ELi16ELi2ELi2ENS_8SequenceIJLi4ELi32ELi1EEEENSB_IJLi1ELi0ELi2EEEESD_Li2ELi2ELi2ELb0ELi0ESC_SD_SD_Li2ELi2ELi2ELb0ELi0ELi1ELi2ENSB_IJLi1ELi32ELi1ELi4EEEELi2ELNS_26BlockGemmPipelineSchedulerE0ELNS_24BlockGemmPipelineVersionE2EffLb0ELb0ELb0ELi0ELb0EEELb1ELNS_25InMemoryDataOperationEnumE1ELi2ELNS_10TailNumberE10EEEvNT_8ArgumentE
                                        ; -- End function
	.set _ZN2ck27kernel_gemm_xdl_cshuffle_v3INS_28GridwiseGemm_xdl_cshuffle_v3INS_13tensor_layout4gemm8RowMajorENS3_11ColumnMajorES4_fffffNS_16tensor_operation12element_wise11PassThroughES8_S8_LNS6_6device18GemmSpecializationE0ELi128ELi64ELi64ELi64ELi4ELi4ELi16ELi16ELi2ELi2ENS_8SequenceIJLi4ELi32ELi1EEEENSB_IJLi1ELi0ELi2EEEESD_Li2ELi2ELi2ELb0ELi0ESC_SD_SD_Li2ELi2ELi2ELb0ELi0ELi1ELi2ENSB_IJLi1ELi32ELi1ELi4EEEELi2ELNS_26BlockGemmPipelineSchedulerE0ELNS_24BlockGemmPipelineVersionE2EffLb0ELb0ELb0ELi0ELb0EEELb1ELNS_25InMemoryDataOperationEnumE1ELi2ELNS_10TailNumberE10EEEvNT_8ArgumentE.num_vgpr, 153
	.set _ZN2ck27kernel_gemm_xdl_cshuffle_v3INS_28GridwiseGemm_xdl_cshuffle_v3INS_13tensor_layout4gemm8RowMajorENS3_11ColumnMajorES4_fffffNS_16tensor_operation12element_wise11PassThroughES8_S8_LNS6_6device18GemmSpecializationE0ELi128ELi64ELi64ELi64ELi4ELi4ELi16ELi16ELi2ELi2ENS_8SequenceIJLi4ELi32ELi1EEEENSB_IJLi1ELi0ELi2EEEESD_Li2ELi2ELi2ELb0ELi0ESC_SD_SD_Li2ELi2ELi2ELb0ELi0ELi1ELi2ENSB_IJLi1ELi32ELi1ELi4EEEELi2ELNS_26BlockGemmPipelineSchedulerE0ELNS_24BlockGemmPipelineVersionE2EffLb0ELb0ELb0ELi0ELb0EEELb1ELNS_25InMemoryDataOperationEnumE1ELi2ELNS_10TailNumberE10EEEvNT_8ArgumentE.num_agpr, 0
	.set _ZN2ck27kernel_gemm_xdl_cshuffle_v3INS_28GridwiseGemm_xdl_cshuffle_v3INS_13tensor_layout4gemm8RowMajorENS3_11ColumnMajorES4_fffffNS_16tensor_operation12element_wise11PassThroughES8_S8_LNS6_6device18GemmSpecializationE0ELi128ELi64ELi64ELi64ELi4ELi4ELi16ELi16ELi2ELi2ENS_8SequenceIJLi4ELi32ELi1EEEENSB_IJLi1ELi0ELi2EEEESD_Li2ELi2ELi2ELb0ELi0ESC_SD_SD_Li2ELi2ELi2ELb0ELi0ELi1ELi2ENSB_IJLi1ELi32ELi1ELi4EEEELi2ELNS_26BlockGemmPipelineSchedulerE0ELNS_24BlockGemmPipelineVersionE2EffLb0ELb0ELb0ELi0ELb0EEELb1ELNS_25InMemoryDataOperationEnumE1ELi2ELNS_10TailNumberE10EEEvNT_8ArgumentE.numbered_sgpr, 30
	.set _ZN2ck27kernel_gemm_xdl_cshuffle_v3INS_28GridwiseGemm_xdl_cshuffle_v3INS_13tensor_layout4gemm8RowMajorENS3_11ColumnMajorES4_fffffNS_16tensor_operation12element_wise11PassThroughES8_S8_LNS6_6device18GemmSpecializationE0ELi128ELi64ELi64ELi64ELi4ELi4ELi16ELi16ELi2ELi2ENS_8SequenceIJLi4ELi32ELi1EEEENSB_IJLi1ELi0ELi2EEEESD_Li2ELi2ELi2ELb0ELi0ESC_SD_SD_Li2ELi2ELi2ELb0ELi0ELi1ELi2ENSB_IJLi1ELi32ELi1ELi4EEEELi2ELNS_26BlockGemmPipelineSchedulerE0ELNS_24BlockGemmPipelineVersionE2EffLb0ELb0ELb0ELi0ELb0EEELb1ELNS_25InMemoryDataOperationEnumE1ELi2ELNS_10TailNumberE10EEEvNT_8ArgumentE.num_named_barrier, 0
	.set _ZN2ck27kernel_gemm_xdl_cshuffle_v3INS_28GridwiseGemm_xdl_cshuffle_v3INS_13tensor_layout4gemm8RowMajorENS3_11ColumnMajorES4_fffffNS_16tensor_operation12element_wise11PassThroughES8_S8_LNS6_6device18GemmSpecializationE0ELi128ELi64ELi64ELi64ELi4ELi4ELi16ELi16ELi2ELi2ENS_8SequenceIJLi4ELi32ELi1EEEENSB_IJLi1ELi0ELi2EEEESD_Li2ELi2ELi2ELb0ELi0ESC_SD_SD_Li2ELi2ELi2ELb0ELi0ELi1ELi2ENSB_IJLi1ELi32ELi1ELi4EEEELi2ELNS_26BlockGemmPipelineSchedulerE0ELNS_24BlockGemmPipelineVersionE2EffLb0ELb0ELb0ELi0ELb0EEELb1ELNS_25InMemoryDataOperationEnumE1ELi2ELNS_10TailNumberE10EEEvNT_8ArgumentE.private_seg_size, 0
	.set _ZN2ck27kernel_gemm_xdl_cshuffle_v3INS_28GridwiseGemm_xdl_cshuffle_v3INS_13tensor_layout4gemm8RowMajorENS3_11ColumnMajorES4_fffffNS_16tensor_operation12element_wise11PassThroughES8_S8_LNS6_6device18GemmSpecializationE0ELi128ELi64ELi64ELi64ELi4ELi4ELi16ELi16ELi2ELi2ENS_8SequenceIJLi4ELi32ELi1EEEENSB_IJLi1ELi0ELi2EEEESD_Li2ELi2ELi2ELb0ELi0ESC_SD_SD_Li2ELi2ELi2ELb0ELi0ELi1ELi2ENSB_IJLi1ELi32ELi1ELi4EEEELi2ELNS_26BlockGemmPipelineSchedulerE0ELNS_24BlockGemmPipelineVersionE2EffLb0ELb0ELb0ELi0ELb0EEELb1ELNS_25InMemoryDataOperationEnumE1ELi2ELNS_10TailNumberE10EEEvNT_8ArgumentE.uses_vcc, 1
	.set _ZN2ck27kernel_gemm_xdl_cshuffle_v3INS_28GridwiseGemm_xdl_cshuffle_v3INS_13tensor_layout4gemm8RowMajorENS3_11ColumnMajorES4_fffffNS_16tensor_operation12element_wise11PassThroughES8_S8_LNS6_6device18GemmSpecializationE0ELi128ELi64ELi64ELi64ELi4ELi4ELi16ELi16ELi2ELi2ENS_8SequenceIJLi4ELi32ELi1EEEENSB_IJLi1ELi0ELi2EEEESD_Li2ELi2ELi2ELb0ELi0ESC_SD_SD_Li2ELi2ELi2ELb0ELi0ELi1ELi2ENSB_IJLi1ELi32ELi1ELi4EEEELi2ELNS_26BlockGemmPipelineSchedulerE0ELNS_24BlockGemmPipelineVersionE2EffLb0ELb0ELb0ELi0ELb0EEELb1ELNS_25InMemoryDataOperationEnumE1ELi2ELNS_10TailNumberE10EEEvNT_8ArgumentE.uses_flat_scratch, 0
	.set _ZN2ck27kernel_gemm_xdl_cshuffle_v3INS_28GridwiseGemm_xdl_cshuffle_v3INS_13tensor_layout4gemm8RowMajorENS3_11ColumnMajorES4_fffffNS_16tensor_operation12element_wise11PassThroughES8_S8_LNS6_6device18GemmSpecializationE0ELi128ELi64ELi64ELi64ELi4ELi4ELi16ELi16ELi2ELi2ENS_8SequenceIJLi4ELi32ELi1EEEENSB_IJLi1ELi0ELi2EEEESD_Li2ELi2ELi2ELb0ELi0ESC_SD_SD_Li2ELi2ELi2ELb0ELi0ELi1ELi2ENSB_IJLi1ELi32ELi1ELi4EEEELi2ELNS_26BlockGemmPipelineSchedulerE0ELNS_24BlockGemmPipelineVersionE2EffLb0ELb0ELb0ELi0ELb0EEELb1ELNS_25InMemoryDataOperationEnumE1ELi2ELNS_10TailNumberE10EEEvNT_8ArgumentE.has_dyn_sized_stack, 0
	.set _ZN2ck27kernel_gemm_xdl_cshuffle_v3INS_28GridwiseGemm_xdl_cshuffle_v3INS_13tensor_layout4gemm8RowMajorENS3_11ColumnMajorES4_fffffNS_16tensor_operation12element_wise11PassThroughES8_S8_LNS6_6device18GemmSpecializationE0ELi128ELi64ELi64ELi64ELi4ELi4ELi16ELi16ELi2ELi2ENS_8SequenceIJLi4ELi32ELi1EEEENSB_IJLi1ELi0ELi2EEEESD_Li2ELi2ELi2ELb0ELi0ESC_SD_SD_Li2ELi2ELi2ELb0ELi0ELi1ELi2ENSB_IJLi1ELi32ELi1ELi4EEEELi2ELNS_26BlockGemmPipelineSchedulerE0ELNS_24BlockGemmPipelineVersionE2EffLb0ELb0ELb0ELi0ELb0EEELb1ELNS_25InMemoryDataOperationEnumE1ELi2ELNS_10TailNumberE10EEEvNT_8ArgumentE.has_recursion, 0
	.set _ZN2ck27kernel_gemm_xdl_cshuffle_v3INS_28GridwiseGemm_xdl_cshuffle_v3INS_13tensor_layout4gemm8RowMajorENS3_11ColumnMajorES4_fffffNS_16tensor_operation12element_wise11PassThroughES8_S8_LNS6_6device18GemmSpecializationE0ELi128ELi64ELi64ELi64ELi4ELi4ELi16ELi16ELi2ELi2ENS_8SequenceIJLi4ELi32ELi1EEEENSB_IJLi1ELi0ELi2EEEESD_Li2ELi2ELi2ELb0ELi0ESC_SD_SD_Li2ELi2ELi2ELb0ELi0ELi1ELi2ENSB_IJLi1ELi32ELi1ELi4EEEELi2ELNS_26BlockGemmPipelineSchedulerE0ELNS_24BlockGemmPipelineVersionE2EffLb0ELb0ELb0ELi0ELb0EEELb1ELNS_25InMemoryDataOperationEnumE1ELi2ELNS_10TailNumberE10EEEvNT_8ArgumentE.has_indirect_call, 0
	.section	.AMDGPU.csdata,"",@progbits
; Kernel info:
; codeLenInByte = 4536
; TotalNumSgprs: 32
; NumVgprs: 153
; ScratchSize: 0
; MemoryBound: 0
; FloatMode: 240
; IeeeMode: 1
; LDSByteSize: 32768 bytes/workgroup (compile time only)
; SGPRBlocks: 0
; VGPRBlocks: 30
; NumSGPRsForWavesPerEU: 32
; NumVGPRsForWavesPerEU: 241
; Occupancy: 4
; WaveLimiterHint : 0
; COMPUTE_PGM_RSRC2:SCRATCH_EN: 0
; COMPUTE_PGM_RSRC2:USER_SGPR: 2
; COMPUTE_PGM_RSRC2:TRAP_HANDLER: 0
; COMPUTE_PGM_RSRC2:TGID_X_EN: 1
; COMPUTE_PGM_RSRC2:TGID_Y_EN: 0
; COMPUTE_PGM_RSRC2:TGID_Z_EN: 1
; COMPUTE_PGM_RSRC2:TIDIG_COMP_CNT: 0
	.section	.text._ZN2ck27kernel_gemm_xdl_cshuffle_v3INS_28GridwiseGemm_xdl_cshuffle_v3INS_13tensor_layout4gemm8RowMajorENS3_11ColumnMajorES4_fffffNS_16tensor_operation12element_wise11PassThroughES8_S8_LNS6_6device18GemmSpecializationE0ELi128ELi64ELi64ELi64ELi4ELi4ELi16ELi16ELi2ELi2ENS_8SequenceIJLi4ELi32ELi1EEEENSB_IJLi1ELi0ELi2EEEESD_Li2ELi2ELi2ELb0ELi0ESC_SD_SD_Li2ELi2ELi2ELb0ELi0ELi1ELi2ENSB_IJLi1ELi32ELi1ELi4EEEELi2ELNS_26BlockGemmPipelineSchedulerE0ELNS_24BlockGemmPipelineVersionE2EffLb0ELb0ELb0ELi0ELb0EEELb1ELNS_25InMemoryDataOperationEnumE0ELi2ELNS_10TailNumberE10EEEvNT_8ArgumentE,"axG",@progbits,_ZN2ck27kernel_gemm_xdl_cshuffle_v3INS_28GridwiseGemm_xdl_cshuffle_v3INS_13tensor_layout4gemm8RowMajorENS3_11ColumnMajorES4_fffffNS_16tensor_operation12element_wise11PassThroughES8_S8_LNS6_6device18GemmSpecializationE0ELi128ELi64ELi64ELi64ELi4ELi4ELi16ELi16ELi2ELi2ENS_8SequenceIJLi4ELi32ELi1EEEENSB_IJLi1ELi0ELi2EEEESD_Li2ELi2ELi2ELb0ELi0ESC_SD_SD_Li2ELi2ELi2ELb0ELi0ELi1ELi2ENSB_IJLi1ELi32ELi1ELi4EEEELi2ELNS_26BlockGemmPipelineSchedulerE0ELNS_24BlockGemmPipelineVersionE2EffLb0ELb0ELb0ELi0ELb0EEELb1ELNS_25InMemoryDataOperationEnumE0ELi2ELNS_10TailNumberE10EEEvNT_8ArgumentE,comdat
	.protected	_ZN2ck27kernel_gemm_xdl_cshuffle_v3INS_28GridwiseGemm_xdl_cshuffle_v3INS_13tensor_layout4gemm8RowMajorENS3_11ColumnMajorES4_fffffNS_16tensor_operation12element_wise11PassThroughES8_S8_LNS6_6device18GemmSpecializationE0ELi128ELi64ELi64ELi64ELi4ELi4ELi16ELi16ELi2ELi2ENS_8SequenceIJLi4ELi32ELi1EEEENSB_IJLi1ELi0ELi2EEEESD_Li2ELi2ELi2ELb0ELi0ESC_SD_SD_Li2ELi2ELi2ELb0ELi0ELi1ELi2ENSB_IJLi1ELi32ELi1ELi4EEEELi2ELNS_26BlockGemmPipelineSchedulerE0ELNS_24BlockGemmPipelineVersionE2EffLb0ELb0ELb0ELi0ELb0EEELb1ELNS_25InMemoryDataOperationEnumE0ELi2ELNS_10TailNumberE10EEEvNT_8ArgumentE ; -- Begin function _ZN2ck27kernel_gemm_xdl_cshuffle_v3INS_28GridwiseGemm_xdl_cshuffle_v3INS_13tensor_layout4gemm8RowMajorENS3_11ColumnMajorES4_fffffNS_16tensor_operation12element_wise11PassThroughES8_S8_LNS6_6device18GemmSpecializationE0ELi128ELi64ELi64ELi64ELi4ELi4ELi16ELi16ELi2ELi2ENS_8SequenceIJLi4ELi32ELi1EEEENSB_IJLi1ELi0ELi2EEEESD_Li2ELi2ELi2ELb0ELi0ESC_SD_SD_Li2ELi2ELi2ELb0ELi0ELi1ELi2ENSB_IJLi1ELi32ELi1ELi4EEEELi2ELNS_26BlockGemmPipelineSchedulerE0ELNS_24BlockGemmPipelineVersionE2EffLb0ELb0ELb0ELi0ELb0EEELb1ELNS_25InMemoryDataOperationEnumE0ELi2ELNS_10TailNumberE10EEEvNT_8ArgumentE
	.globl	_ZN2ck27kernel_gemm_xdl_cshuffle_v3INS_28GridwiseGemm_xdl_cshuffle_v3INS_13tensor_layout4gemm8RowMajorENS3_11ColumnMajorES4_fffffNS_16tensor_operation12element_wise11PassThroughES8_S8_LNS6_6device18GemmSpecializationE0ELi128ELi64ELi64ELi64ELi4ELi4ELi16ELi16ELi2ELi2ENS_8SequenceIJLi4ELi32ELi1EEEENSB_IJLi1ELi0ELi2EEEESD_Li2ELi2ELi2ELb0ELi0ESC_SD_SD_Li2ELi2ELi2ELb0ELi0ELi1ELi2ENSB_IJLi1ELi32ELi1ELi4EEEELi2ELNS_26BlockGemmPipelineSchedulerE0ELNS_24BlockGemmPipelineVersionE2EffLb0ELb0ELb0ELi0ELb0EEELb1ELNS_25InMemoryDataOperationEnumE0ELi2ELNS_10TailNumberE10EEEvNT_8ArgumentE
	.p2align	8
	.type	_ZN2ck27kernel_gemm_xdl_cshuffle_v3INS_28GridwiseGemm_xdl_cshuffle_v3INS_13tensor_layout4gemm8RowMajorENS3_11ColumnMajorES4_fffffNS_16tensor_operation12element_wise11PassThroughES8_S8_LNS6_6device18GemmSpecializationE0ELi128ELi64ELi64ELi64ELi4ELi4ELi16ELi16ELi2ELi2ENS_8SequenceIJLi4ELi32ELi1EEEENSB_IJLi1ELi0ELi2EEEESD_Li2ELi2ELi2ELb0ELi0ESC_SD_SD_Li2ELi2ELi2ELb0ELi0ELi1ELi2ENSB_IJLi1ELi32ELi1ELi4EEEELi2ELNS_26BlockGemmPipelineSchedulerE0ELNS_24BlockGemmPipelineVersionE2EffLb0ELb0ELb0ELi0ELb0EEELb1ELNS_25InMemoryDataOperationEnumE0ELi2ELNS_10TailNumberE10EEEvNT_8ArgumentE,@function
_ZN2ck27kernel_gemm_xdl_cshuffle_v3INS_28GridwiseGemm_xdl_cshuffle_v3INS_13tensor_layout4gemm8RowMajorENS3_11ColumnMajorES4_fffffNS_16tensor_operation12element_wise11PassThroughES8_S8_LNS6_6device18GemmSpecializationE0ELi128ELi64ELi64ELi64ELi4ELi4ELi16ELi16ELi2ELi2ENS_8SequenceIJLi4ELi32ELi1EEEENSB_IJLi1ELi0ELi2EEEESD_Li2ELi2ELi2ELb0ELi0ESC_SD_SD_Li2ELi2ELi2ELb0ELi0ELi1ELi2ENSB_IJLi1ELi32ELi1ELi4EEEELi2ELNS_26BlockGemmPipelineSchedulerE0ELNS_24BlockGemmPipelineVersionE2EffLb0ELb0ELb0ELi0ELb0EEELb1ELNS_25InMemoryDataOperationEnumE0ELi2ELNS_10TailNumberE10EEEvNT_8ArgumentE: ; @_ZN2ck27kernel_gemm_xdl_cshuffle_v3INS_28GridwiseGemm_xdl_cshuffle_v3INS_13tensor_layout4gemm8RowMajorENS3_11ColumnMajorES4_fffffNS_16tensor_operation12element_wise11PassThroughES8_S8_LNS6_6device18GemmSpecializationE0ELi128ELi64ELi64ELi64ELi4ELi4ELi16ELi16ELi2ELi2ENS_8SequenceIJLi4ELi32ELi1EEEENSB_IJLi1ELi0ELi2EEEESD_Li2ELi2ELi2ELb0ELi0ESC_SD_SD_Li2ELi2ELi2ELb0ELi0ELi1ELi2ENSB_IJLi1ELi32ELi1ELi4EEEELi2ELNS_26BlockGemmPipelineSchedulerE0ELNS_24BlockGemmPipelineVersionE2EffLb0ELb0ELb0ELi0ELb0EEELb1ELNS_25InMemoryDataOperationEnumE0ELi2ELNS_10TailNumberE10EEEvNT_8ArgumentE
; %bb.0:
	s_clause 0x4
	s_load_b96 s[16:18], s[0:1], 0x20
	s_load_b96 s[12:14], s[0:1], 0x60
	s_load_b128 s[8:11], s[0:1], 0x10
	s_load_b32 s2, s[0:1], 0x3c
	s_load_b128 s[4:7], s[0:1], 0x50
	s_lshr_b32 s3, ttmp7, 16
	s_mov_b32 s23, ttmp9
	s_mov_b64 s[20:21], 0
	s_wait_kmcnt 0x0
	s_cmp_gt_i32 s18, 1
	s_cselect_b32 s15, -1, 0
	s_bitcmp1_b32 s14, 0
	s_cselect_b32 s14, -1, 0
	s_delay_alu instid0(SALU_CYCLE_1) | instskip(NEXT) | instid1(SALU_CYCLE_1)
	s_and_b32 s14, s15, s14
	s_and_not1_b32 vcc_lo, exec_lo, s14
	s_cbranch_vccnz .LBB4_2
; %bb.1:
	s_mul_i32 s14, s8, s3
	s_delay_alu instid0(SALU_CYCLE_1) | instskip(NEXT) | instid1(SALU_CYCLE_1)
	s_mul_i32 s20, s14, s9
	s_ashr_i32 s21, s20, 31
.LBB4_2:
	s_load_b32 s22, s[0:1], 0x34
	s_add_co_i32 s15, s8, -1
	s_mov_b32 s14, 0
	s_cmp_lt_u32 s15, 64
	s_cbranch_scc1 .LBB4_6
; %bb.3:
	s_add_co_i32 s0, s9, -1
	s_delay_alu instid0(SALU_CYCLE_1)
	s_cmp_lt_u32 s0, 64
	s_mov_b32 s0, 0
	s_cbranch_scc1 .LBB4_10
; %bb.4:
	s_add_co_i32 s0, s8, 63
	s_add_co_i32 s1, s9, 63
	s_ashr_i32 s19, s0, 31
	s_ashr_i32 s24, s1, 31
	s_lshr_b32 s19, s19, 26
	s_lshr_b32 s24, s24, 26
	s_add_co_i32 s0, s0, s19
	s_add_co_i32 s19, s1, s24
	s_ashr_i32 s1, s0, 6
	s_ashr_i32 s0, s19, 6
	;; [unrolled: 1-line block ×3, first 2 shown]
	s_mul_i32 s19, s0, s1
	s_delay_alu instid0(SALU_CYCLE_1) | instskip(NEXT) | instid1(SALU_CYCLE_1)
	s_add_co_i32 s24, s19, 7
	s_ashr_i32 s25, s24, 31
	s_delay_alu instid0(SALU_CYCLE_1) | instskip(NEXT) | instid1(SALU_CYCLE_1)
	s_lshr_b32 s25, s25, 29
	s_add_co_i32 s25, s24, s25
	s_lshr_b32 s24, s26, 29
	s_and_b32 s27, s25, -8
	s_add_co_i32 s26, s23, s24
	s_sub_co_i32 s24, s19, s27
	s_and_b32 s19, s26, -8
	s_add_co_i32 s24, s24, 8
	s_sub_co_i32 s23, s23, s19
	s_ashr_i32 s25, s25, 3
	s_cmp_gt_i32 s23, s24
	s_cbranch_scc1 .LBB4_7
; %bb.5:
	s_mul_i32 s19, s25, s23
	s_ashr_i32 s26, s26, 3
	s_cbranch_execz .LBB4_8
	s_branch .LBB4_9
.LBB4_6:
	s_mov_b32 s19, s14
	s_branch .LBB4_11
.LBB4_7:
                                        ; implicit-def: $sgpr19
	s_ashr_i32 s26, s26, 3
.LBB4_8:
	s_add_co_i32 s19, s25, -1
	s_delay_alu instid0(SALU_CYCLE_1) | instskip(NEXT) | instid1(SALU_CYCLE_1)
	s_mul_i32 s19, s19, s23
	s_add_co_i32 s19, s24, s19
.LBB4_9:
	s_abs_i32 s23, s0
	s_add_co_i32 s19, s19, s26
	s_cvt_f32_u32 s24, s23
	s_sub_co_i32 s25, 0, s23
	s_abs_i32 s26, s19
	s_delay_alu instid0(SALU_CYCLE_1) | instskip(NEXT) | instid1(TRANS32_DEP_1)
	v_rcp_iflag_f32_e32 v1, s24
	v_readfirstlane_b32 s24, v1
	s_mul_f32 s24, s24, 0x4f7ffffe
	s_wait_alu 0xfffe
	s_delay_alu instid0(SALU_CYCLE_2) | instskip(SKIP_1) | instid1(SALU_CYCLE_2)
	s_cvt_u32_f32 s24, s24
	s_wait_alu 0xfffe
	s_mul_i32 s25, s25, s24
	s_wait_alu 0xfffe
	s_mul_hi_u32 s25, s24, s25
	s_wait_alu 0xfffe
	s_add_co_i32 s24, s24, s25
	s_xor_b32 s25, s19, s0
	s_wait_alu 0xfffe
	s_mul_hi_u32 s24, s26, s24
	s_ashr_i32 s25, s25, 31
	s_wait_alu 0xfffe
	s_mul_i32 s27, s24, s23
	s_delay_alu instid0(SALU_CYCLE_1)
	s_sub_co_i32 s26, s26, s27
	s_add_co_i32 s27, s24, 1
	s_sub_co_i32 s28, s26, s23
	s_cmp_ge_u32 s26, s23
	s_cselect_b32 s24, s27, s24
	s_cselect_b32 s26, s28, s26
	s_wait_alu 0xfffe
	s_add_co_i32 s27, s24, 1
	s_cmp_ge_u32 s26, s23
	s_cselect_b32 s23, s27, s24
	s_lshr_b32 s24, s1, 30
	s_xor_b32 s23, s23, s25
	s_wait_alu 0xfffe
	s_add_co_i32 s24, s1, s24
	s_sub_co_i32 s23, s23, s25
	s_wait_alu 0xfffe
	s_and_b32 s24, s24, -4
	s_mul_i32 s25, s23, s0
	s_wait_alu 0xfffe
	s_sub_co_i32 s1, s1, s24
	s_sub_co_i32 s19, s19, s25
	s_cmp_ge_i32 s23, s24
	s_cselect_b32 s1, s1, 4
	s_ashr_i32 s26, s23, 31
	s_abs_i32 s24, s1
	s_lshr_b32 s26, s26, 30
	s_wait_alu 0xfffe
	s_cvt_f32_u32 s25, s24
	s_add_co_i32 s26, s23, s26
	s_sub_co_i32 s27, 0, s24
	s_and_b32 s26, s26, -4
	s_wait_alu 0xfffe
	v_rcp_iflag_f32_e32 v1, s25
	s_sub_co_i32 s26, s23, s26
	s_delay_alu instid0(SALU_CYCLE_1) | instskip(NEXT) | instid1(SALU_CYCLE_1)
	s_mul_i32 s0, s26, s0
	s_add_co_i32 s19, s0, s19
	s_delay_alu instid0(TRANS32_DEP_1) | instskip(SKIP_2) | instid1(SALU_CYCLE_2)
	v_readfirstlane_b32 s25, v1
	s_mul_f32 s25, s25, 0x4f7ffffe
	s_wait_alu 0xfffe
	s_cvt_u32_f32 s25, s25
	s_wait_alu 0xfffe
	s_delay_alu instid0(SALU_CYCLE_2) | instskip(NEXT) | instid1(SALU_CYCLE_1)
	s_mul_i32 s27, s27, s25
	s_mul_hi_u32 s0, s25, s27
	s_abs_i32 s27, s19
	s_add_co_i32 s25, s25, s0
	s_wait_alu 0xfffe
	s_mul_hi_u32 s0, s27, s25
	s_xor_b32 s25, s19, s1
	s_mul_i32 s28, s0, s24
	s_wait_alu 0xfffe
	s_ashr_i32 s25, s25, 31
	s_sub_co_i32 s27, s27, s28
	s_add_co_i32 s28, s0, 1
	s_sub_co_i32 s29, s27, s24
	s_cmp_ge_u32 s27, s24
	s_cselect_b32 s0, s28, s0
	s_cselect_b32 s27, s29, s27
	s_add_co_i32 s28, s0, 1
	s_cmp_ge_u32 s27, s24
	s_cselect_b32 s0, s28, s0
	s_wait_alu 0xfffe
	s_xor_b32 s0, s0, s25
	s_delay_alu instid0(SALU_CYCLE_1) | instskip(NEXT) | instid1(SALU_CYCLE_1)
	s_sub_co_i32 s0, s0, s25
	s_mul_i32 s1, s0, s1
	s_delay_alu instid0(SALU_CYCLE_1) | instskip(NEXT) | instid1(SALU_CYCLE_1)
	s_sub_co_i32 s1, s19, s1
	s_add_co_i32 s1, s1, s23
	s_delay_alu instid0(SALU_CYCLE_1)
	s_sub_co_i32 s23, s1, s26
.LBB4_10:
	s_delay_alu instid0(SALU_CYCLE_1)
	s_mov_b32 s19, s23
	s_mov_b32 s23, s0
.LBB4_11:
	s_wait_kmcnt 0x0
	s_mul_i32 s0, s22, s3
	v_lshrrev_b32_e32 v65, 1, v0
	s_ashr_i32 s1, s0, 31
	s_add_co_i32 s18, s18, -1
	s_lshl_b64 s[26:27], s[0:1], 2
	v_lshlrev_b32_e32 v1, 2, v0
	s_add_nc_u64 s[0:1], s[4:5], s[26:27]
	s_add_nc_u64 s[4:5], s[6:7], s[26:27]
	s_mul_i32 s6, s18, s22
	s_add_co_i32 s7, s9, 0x3fffffff
	s_sub_co_i32 s6, s10, s6
	v_and_b32_e32 v136, 62, v65
	s_cmp_lt_u32 s3, s18
	v_and_b32_e32 v66, 12, v1
	s_cselect_b32 s18, s22, s6
	s_lshl_b32 s10, s23, 6
	v_lshl_or_b32 v2, s19, 6, v136
	v_or_b32_e32 v1, s10, v136
	v_and_b32_e32 v71, 14, v65
	s_ashr_i32 s3, s2, 31
	s_mov_b32 s22, s16
	v_mul_lo_u32 v137, v2, s11
	v_mul_lo_u32 v138, v1, s16
	v_lshlrev_b32_e32 v2, 2, v66
	v_xor_b32_e32 v67, v71, v66
	v_lshlrev_b32_e32 v1, 6, v136
	s_mov_b32 s23, s14
	s_mov_b32 s6, s14
	s_lshr_b32 s3, s3, 28
	v_add_nc_u32_e32 v3, v137, v2
	v_add_nc_u32_e32 v21, v138, v2
	s_mov_b32 s24, s11
	s_mov_b32 s25, s14
	s_add_co_i32 s2, s2, s3
	s_mul_u64 s[6:7], s[6:7], s[22:23]
	s_wait_alu 0xfffe
	s_mul_u64 s[24:25], s[14:15], s[24:25]
	v_lshl_or_b32 v139, v67, 2, v1
	s_ashr_i32 s22, s2, 4
	; sched_barrier mask(0x00000000)
	v_add_nc_u32_e32 v1, 12, v3
	v_lshlrev_b32_e32 v13, 2, v3
	s_wait_alu 0xfffe
	s_add_co_i32 s2, s18, s25
	s_mov_b32 s3, 0x31004000
	s_lshl_b32 s2, s2, 2
	v_add_lshl_u32 v2, v1, s11, 2
	v_lshlrev_b32_e32 v1, 2, v1
	s_and_b32 s1, s1, 0xffff
	s_clause 0x3
	buffer_load_b128 v[72:75], v13, s[0:3], null offen
	buffer_load_b128 v[76:79], v13, s[0:3], null offen offset:16
	buffer_load_b128 v[80:83], v13, s[0:3], null offen offset:32
	buffer_load_b64 v[112:113], v13, s[0:3], null offen offset:56
	v_add_nc_u32_e32 v4, -8, v2
	v_add_nc_u32_e32 v5, -16, v2
	v_subrev_nc_u32_e32 v6, 32, v2
	v_subrev_nc_u32_e32 v7, 24, v2
	s_clause 0x5
	buffer_load_b64 v[114:115], v1, s[0:3], null offen
	buffer_load_b128 v[84:87], v2, s[0:3], null offen
	buffer_load_b64 v[116:117], v4, s[0:3], null offen
	buffer_load_b64 v[118:119], v5, s[0:3], null offen
	;; [unrolled: 1-line block ×4, first 2 shown]
	v_add_nc_u32_e32 v1, 12, v21
	v_add_nc_u32_e32 v9, 0x4c, v3
	s_add_co_i32 s18, s18, s7
	v_add_nc_u32_e32 v32, 0x4c, v21
	v_subrev_nc_u32_e32 v14, 40, v2
	v_lshlrev_b32_e32 v29, 2, v21
	v_lshlrev_b32_e32 v2, 2, v1
	v_add_lshl_u32 v1, v1, s16, 2
	v_add_lshl_u32 v22, v9, s11, 2
	s_wait_alu 0xfffe
	s_lshl_b32 s18, s18, 2
	s_and_b32 s5, s5, 0xffff
	s_wait_alu 0xfffe
	s_mov_b32 s6, s18
	s_mov_b32 s7, s3
	v_add_lshl_u32 v50, v32, s16, 2
	s_clause 0x5
	buffer_load_b128 v[88:91], v29, s[4:7], null offen
	buffer_load_b128 v[92:95], v29, s[4:7], null offen offset:16
	buffer_load_b128 v[96:99], v29, s[4:7], null offen offset:32
	buffer_load_b64 v[124:125], v29, s[4:7], null offen offset:56
	buffer_load_b64 v[126:127], v2, s[4:7], null offen
	buffer_load_b128 v[100:103], v1, s[4:7], null offen
	v_add_nc_u32_e32 v2, -8, v1
	v_subrev_nc_u32_e32 v30, 40, v1
	v_add_nc_u32_e32 v25, -16, v22
	v_add_lshl_u32 v17, v3, s11, 2
	v_add_nc_u32_e32 v4, -16, v1
	v_add_lshl_u32 v49, v21, s16, 2
	v_subrev_nc_u32_e32 v26, 32, v22
	v_subrev_nc_u32_e32 v5, 32, v1
	v_lshlrev_b32_e32 v18, 2, v9
	v_subrev_nc_u32_e32 v27, 24, v22
	v_lshlrev_b32_e32 v51, 2, v32
	v_subrev_nc_u32_e32 v6, 24, v1
	v_subrev_nc_u32_e32 v28, 40, v22
	v_add_nc_u32_e32 v23, -8, v22
	v_subrev_nc_u32_e32 v31, 48, v22
	v_add_nc_u32_e32 v52, -8, v50
	s_clause 0x3
	buffer_load_b64 v[128:129], v2, s[4:7], null offen
	buffer_load_b64 v[130:131], v4, s[4:7], null offen
	;; [unrolled: 1-line block ×4, first 2 shown]
	s_clause 0xd
	buffer_load_b128 v[1:4], v13, s[0:3], null offen offset:256
	buffer_load_b128 v[5:8], v13, s[0:3], null offen offset:272
	;; [unrolled: 1-line block ×3, first 2 shown]
	buffer_load_b64 v[15:16], v13, s[0:3], null offen offset:312
	buffer_load_b64 v[106:107], v14, s[0:3], null offen
	buffer_load_b64 v[104:105], v17, s[0:3], null offen
	;; [unrolled: 1-line block ×3, first 2 shown]
	buffer_load_b128 v[17:20], v22, s[0:3], null offen
	buffer_load_b64 v[23:24], v23, s[0:3], null offen
	buffer_load_b64 v[21:22], v25, s[0:3], null offen
	;; [unrolled: 1-line block ×6, first 2 shown]
	s_clause 0x8
	buffer_load_b128 v[33:36], v29, s[4:7], null offen offset:256
	buffer_load_b128 v[25:28], v29, s[4:7], null offen offset:272
	;; [unrolled: 1-line block ×3, first 2 shown]
	buffer_load_b64 v[31:32], v29, s[4:7], null offen offset:312
	buffer_load_b64 v[110:111], v30, s[4:7], null offen
	buffer_load_b64 v[108:109], v49, s[4:7], null offen
	;; [unrolled: 1-line block ×3, first 2 shown]
	buffer_load_b128 v[53:56], v50, s[4:7], null offen
	buffer_load_b64 v[51:52], v52, s[4:7], null offen
	v_add_nc_u32_e32 v49, -16, v50
	v_subrev_nc_u32_e32 v57, 32, v50
	v_subrev_nc_u32_e32 v59, 24, v50
	;; [unrolled: 1-line block ×4, first 2 shown]
	s_clause 0x4
	buffer_load_b64 v[49:50], v49, s[4:7], null offen
	buffer_load_b64 v[57:58], v57, s[4:7], null offen
	;; [unrolled: 1-line block ×5, first 2 shown]
	v_or_b32_e32 v140, 1, v71
	v_or_b32_e32 v68, 1, v66
	v_lshlrev_b32_e32 v141, 2, v139
	v_or_b32_e32 v69, 2, v66
	s_delay_alu instid0(VALU_DEP_4) | instskip(NEXT) | instid1(VALU_DEP_4)
	v_xor_b32_e32 v70, v140, v66
	v_xor_b32_e32 v142, v140, v68
	;; [unrolled: 1-line block ×3, first 2 shown]
	s_delay_alu instid0(VALU_DEP_4)
	v_xor_b32_e32 v147, v69, v71
	v_xor_b32_e32 v149, v69, v140
	v_sub_nc_u32_e32 v143, v70, v67
	v_sub_nc_u32_e32 v145, v142, v70
	v_or_b32_e32 v70, 3, v66
	v_sub_nc_u32_e32 v142, v144, v142
	s_delay_alu instid0(VALU_DEP_4) | instskip(SKIP_1) | instid1(VALU_DEP_4)
	v_lshl_add_u32 v146, v143, 4, v141
	v_lshl_add_u32 v139, v143, 2, v139
	v_xor_b32_e32 v140, v140, v70
	v_sub_nc_u32_e32 v143, v147, v144
	v_xor_b32_e32 v71, v70, v71
	v_lshl_add_u32 v148, v145, 4, v146
	v_lshl_add_u32 v139, v145, 2, v139
	v_sub_nc_u32_e32 v145, v149, v147
	v_sub_nc_u32_e32 v147, v140, v149
	v_sub_nc_u32_e32 v140, v71, v140
	v_lshl_add_u32 v144, v142, 4, v148
	v_lshl_add_u32 v139, v142, 2, v139
	v_sub_nc_u32_e32 v71, v67, v71
	v_lshlrev_b32_e32 v142, 2, v145
	v_lshlrev_b32_e32 v150, 2, v147
	v_lshl_add_u32 v149, v143, 4, v144
	v_lshl_add_u32 v139, v143, 2, v139
	v_lshlrev_b32_e32 v143, 2, v140
	v_lshlrev_b32_e32 v71, 2, v71
	s_delay_alu instid0(VALU_DEP_4) | instskip(NEXT) | instid1(VALU_DEP_4)
	v_lshl_add_u32 v145, v145, 4, v149
	v_add3_u32 v139, v142, v139, v150
	v_add_nc_u32_e32 v142, 0x4100, v148
	v_add_nc_u32_e32 v150, 0x4000, v144
	;; [unrolled: 1-line block ×3, first 2 shown]
	v_lshl_add_u32 v147, v147, 4, v145
	v_add3_u32 v71, v139, v143, v71
	v_add_nc_u32_e32 v139, 0x4100, v145
	s_delay_alu instid0(VALU_DEP_3) | instskip(SKIP_1) | instid1(VALU_DEP_2)
	v_lshl_add_u32 v140, v140, 4, v147
	v_add_nc_u32_e32 v143, 0x4100, v147
	v_add_nc_u32_e32 v152, 0x4000, v140
	s_wait_loadcnt 0x2f
	ds_store_b128 v141, v[72:75]
	s_wait_loadcnt 0x16
	ds_store_b128 v146, v[104:107] offset:256
	ds_store_2addr_b64 v148, v[120:121], v[122:123] offset0:32 offset1:33
	ds_store_2addr_b64 v144, v[76:77], v[78:79] offset1:1
	ds_store_2addr_b64 v149, v[80:81], v[82:83] offset1:1
	ds_store_2addr_b64 v145, v[118:119], v[116:117] offset0:32 offset1:33
	ds_store_2addr_b64 v147, v[84:85], v[86:87] offset0:32 offset1:33
	ds_store_2addr_b64 v140, v[114:115], v[112:113] offset1:1
	ds_store_b128 v141, v[88:91] offset:16384
	s_wait_loadcnt 0x8
	ds_store_b128 v146, v[108:111] offset:16640
	ds_store_2addr_b64 v142, v[132:133], v[134:135] offset1:1
	ds_store_2addr_b64 v150, v[92:93], v[94:95] offset1:1
	ds_store_2addr_b64 v151, v[96:97], v[98:99] offset1:1
	ds_store_2addr_b64 v139, v[130:131], v[128:129] offset1:1
	ds_store_2addr_b64 v143, v[100:101], v[102:103] offset1:1
	ds_store_2addr_b64 v152, v[126:127], v[124:125] offset1:1
	s_wait_dscnt 0x0
	s_barrier_signal -1
	s_barrier_wait -1
	; sched_barrier mask(0x00000000)
	v_or_b32_e32 v72, 1, v65
	v_dual_mov_b32 v80, v71 :: v_dual_and_b32 v77, 3, v0
	v_add_lshl_u32 v73, v138, s16, 2
	v_lshlrev_b32_e32 v74, 2, v138
	s_delay_alu instid0(VALU_DEP_4)
	v_sub_nc_u32_e32 v79, v72, v136
	v_add_lshl_u32 v75, v137, s11, 2
	v_lshlrev_b32_e32 v76, 2, v137
	v_lshlrev_b32_e32 v77, 6, v77
	s_max_i32 s6, s22, 2
	v_lshlrev_b32_e32 v78, 6, v79
	v_add_nc_u32_e32 v79, -1, v79
	s_add_co_i32 s11, s6, -1
	s_mov_b32 s6, s18
.LBB4_12:                               ; =>This Inner Loop Header: Depth=1
	v_ashrrev_i32_e32 v82, 31, v72
	v_add_nc_u32_e32 v83, -1, v72
	v_lshlrev_b32_e32 v81, 2, v80
	v_lshlrev_b32_e32 v84, 2, v71
	s_wait_dscnt 0x0
	v_lshrrev_b32_e32 v82, 28, v82
	v_ashrrev_i32_e32 v89, 31, v83
	s_barrier_signal -1
	s_barrier_wait -1
	s_wait_loadcnt 0xf
	ds_store_2addr_b64 v81, v[1:2], v[3:4] offset1:1
	v_add_nc_u32_e32 v82, v72, v82
	v_lshrrev_b32_e32 v89, 28, v89
	v_add_nc_u32_e32 v90, 0x4000, v84
	v_add_nc_u32_e32 v85, v77, v76
	;; [unrolled: 1-line block ×3, first 2 shown]
	v_and_b32_e32 v82, -16, v82
	v_add_nc_u32_e32 v89, v83, v89
	v_add_nc_u32_e32 v87, v77, v74
	;; [unrolled: 1-line block ×3, first 2 shown]
	buffer_load_b128 v[1:4], v85, s[0:3], null offen offset:512
	v_sub_nc_u32_e32 v82, v72, v82
	v_and_b32_e32 v89, -16, v89
	; sched_group_barrier mask(0x00000020) size(1) SyncID(0)
	; sched_group_barrier mask(0x00000008) size(1) SyncID(0)
	s_delay_alu instid0(VALU_DEP_2) | instskip(SKIP_1) | instid1(VALU_DEP_3)
	v_xor_b32_e32 v91, v82, v66
	v_xor_b32_e32 v92, v82, v68
	v_sub_nc_u32_e32 v83, v83, v89
	v_xor_b32_e32 v89, v82, v69
	v_xor_b32_e32 v82, v82, v70
	v_sub_nc_u32_e32 v67, v91, v67
	v_sub_nc_u32_e32 v91, v92, v91
	v_xor_b32_e32 v93, v83, v68
	v_xor_b32_e32 v94, v83, v69
	v_sub_nc_u32_e32 v95, v82, v89
	v_lshl_add_u32 v97, v67, 2, v78
	v_lshlrev_b32_e32 v67, 4, v91
	v_sub_nc_u32_e32 v92, v93, v92
	v_sub_nc_u32_e32 v93, v94, v93
	;; [unrolled: 1-line block ×3, first 2 shown]
	v_lshlrev_b32_e32 v98, 2, v97
	v_xor_b32_e32 v96, v83, v70
	v_lshl_add_u32 v99, v92, 2, 0xffffffc0
	v_lshlrev_b32_e32 v100, 4, v93
	v_lshlrev_b32_e32 v101, 4, v89
	v_add_nc_u32_e32 v81, v81, v98
	v_add_nc_u32_e32 v84, v84, v98
	v_lshlrev_b32_e32 v94, 4, v95
	v_sub_nc_u32_e32 v82, v96, v82
	s_delay_alu instid0(VALU_DEP_4) | instskip(NEXT) | instid1(VALU_DEP_4)
	v_add_nc_u32_e32 v98, v81, v67
	v_add_nc_u32_e32 v67, v84, v67
	s_wait_loadcnt 0xc
	ds_store_2addr_b64 v81, v[45:46], v[47:48] offset1:1
	v_lshl_add_u32 v102, v82, 2, 0xffffffc0
	v_lshlrev_b32_e32 v82, 4, v82
	v_lshl_add_u32 v46, v99, 2, v98
	v_lshl_add_u32 v47, v92, 4, v67
	s_wait_loadcnt 0xb
	ds_store_2addr_b64 v98, v[41:42], v[43:44] offset1:1
	v_add_nc_u32_e32 v45, 0x4000, v84
	v_add_nc_u32_e32 v41, 0x4000, v67
	;; [unrolled: 1-line block ×4, first 2 shown]
	ds_store_2addr_b64 v46, v[5:6], v[7:8] offset1:1
	v_add_nc_u32_e32 v44, 0x3f00, v47
	buffer_load_b128 v[5:8], v85, s[0:3], null offen offset:528
	v_add_nc_u32_e32 v46, v42, v101
	ds_store_2addr_b64 v42, v[9:10], v[11:12] offset1:1
	v_add_nc_u32_e32 v42, 0x3f00, v43
	v_add_nc_u32_e32 v43, v43, v101
	buffer_load_b128 v[9:12], v85, s[0:3], null offen offset:544
	v_add3_u32 v47, 0x100, v46, v94
	s_wait_loadcnt 0xc
	ds_store_2addr_b64 v46, v[21:22], v[23:24] offset0:32 offset1:33
	v_lshlrev_b32_e32 v81, 2, v91
	v_add_nc_u32_e32 v21, v43, v94
	v_add_nc_u32_e32 v22, 0x4000, v43
	v_lshl_add_u32 v23, v102, 2, v47
	s_wait_loadcnt 0xb
	ds_store_2addr_b64 v47, v[17:18], v[19:20] offset1:1
	v_xor_b32_e32 v67, v83, v66
	v_add_nc_u32_e32 v17, 0x4000, v21
	v_add3_u32 v18, v21, v82, 0x3f00
	ds_store_2addr_b64 v23, v[13:14], v[15:16] offset1:1
	s_wait_loadcnt 0xa
	ds_store_2addr_b64 v90, v[33:34], v[35:36] offset1:1
	s_wait_loadcnt 0x3
	ds_store_2addr_b64 v45, v[61:62], v[63:64] offset1:1
	ds_store_2addr_b64 v41, v[57:58], v[59:60] offset1:1
	;; [unrolled: 1-line block ×7, first 2 shown]
	s_clause 0x4
	buffer_load_b128 v[13:16], v85, s[0:3], null offen offset:560
	buffer_load_b128 v[45:48], v86, s[0:3], null offen offset:512
	;; [unrolled: 1-line block ×5, first 2 shown]
	s_clause 0x7
	buffer_load_b128 v[33:36], v87, s[4:7], null offen offset:512
	buffer_load_b128 v[25:28], v87, s[4:7], null offen offset:528
	buffer_load_b128 v[37:40], v87, s[4:7], null offen offset:544
	buffer_load_b128 v[29:32], v87, s[4:7], null offen offset:560
	buffer_load_b128 v[61:64], v88, s[4:7], null offen offset:512
	buffer_load_b128 v[57:60], v88, s[4:7], null offen offset:528
	buffer_load_b128 v[49:52], v88, s[4:7], null offen offset:544
	buffer_load_b128 v[53:56], v88, s[4:7], null offen offset:560
	v_add3_u32 v80, v80, v97, v81
	v_lshlrev_b32_e32 v82, 2, v93
	v_add3_u32 v71, v97, v71, v81
	v_lshlrev_b32_e32 v81, 2, v95
	v_sub_nc_u32_e32 v83, v67, v96
	v_lshl_add_u32 v84, v89, 2, 64
	v_add3_u32 v80, v80, v99, v82
	v_add3_u32 v71, v71, v99, v82
	; sched_group_barrier mask(0x00000020) size(1) SyncID(0)
	; sched_group_barrier mask(0x00000008) size(1) SyncID(0)
	;; [unrolled: 1-line block ×4, first 2 shown]
	s_wait_dscnt 0x0
	v_lshlrev_b32_e32 v82, 2, v83
	s_barrier_signal -1
	v_add3_u32 v80, v80, v84, v81
	v_add3_u32 v71, v71, v84, v81
	s_barrier_wait -1
	; sched_group_barrier mask(0x00000020) size(1) SyncID(0)
	; sched_group_barrier mask(0x00000008) size(1) SyncID(0)
	;; [unrolled: 1-line block ×122, first 2 shown]
	s_delay_alu instid0(VALU_DEP_2) | instskip(NEXT) | instid1(VALU_DEP_2)
	v_add3_u32 v80, v80, v102, v82
	v_add3_u32 v71, v71, v102, v82
	; sched_barrier mask(0x00000000)
	v_add_nc_u32_e32 v72, v72, v79
	v_add_nc_u32_e32 v73, 0x100, v73
	;; [unrolled: 1-line block ×5, first 2 shown]
	s_add_co_i32 s11, s11, -1
	s_wait_alu 0xfffe
	s_cmp_lg_u32 s11, 0
	s_cbranch_scc1 .LBB4_12
; %bb.13:
	s_wait_loadcnt 0xf
	v_lshlrev_b32_e32 v1, 4, v0
	v_lshrrev_b32_e32 v4, 2, v0
	v_and_b32_e32 v0, 15, v0
	s_lshl_b64 s[0:1], s[20:21], 2
	s_wait_loadcnt_dscnt 0xe00
	v_and_b32_e32 v5, 48, v1
	v_and_b32_e32 v1, 24, v65
	v_and_or_b32 v0, v4, 16, v0
	s_add_nc_u64 s[12:13], s[12:13], s[0:1]
	s_mov_b32 s1, 0
	s_mov_b32 s0, s17
	v_lshlrev_b32_e32 v1, 2, v1
	s_wait_loadcnt 0x8
	v_or_b32_e32 v17, s10, v5
	v_lshlrev_b32_e32 v5, 2, v5
	s_mul_u64 s[4:5], s[14:15], s[0:1]
	s_mov_b32 s0, s1
	s_mov_b32 s2, s1
	;; [unrolled: 1-line block ×3, first 2 shown]
	v_lshl_or_b32 v18, v0, 8, v1
	v_dual_mov_b32 v0, s0 :: v_dual_mov_b32 v1, s1
	v_dual_mov_b32 v2, s2 :: v_dual_mov_b32 v3, s3
	v_lshl_or_b32 v19, v4, 8, v5
	v_lshl_or_b32 v16, s19, 6, v4
	s_barrier_signal -1
	s_barrier_wait -1
	ds_store_b128 v18, v[0:3]
	ds_store_b128 v18, v[0:3] offset:16
	ds_store_b128 v18, v[0:3] offset:144
	;; [unrolled: 1-line block ×3, first 2 shown]
	s_wait_dscnt 0x0
	s_barrier_signal -1
	s_barrier_wait -1
	ds_load_b128 v[4:7], v19
	v_or_b32_e32 v13, 2, v17
	v_mul_lo_u32 v12, v16, s17
	v_cmp_gt_i32_e32 vcc_lo, s9, v17
	v_cmp_gt_i32_e64 s0, s8, v16
	v_or_b32_e32 v14, 4, v17
	s_add_co_i32 s1, s9, s5
	ds_load_b128 v[8:11], v19 offset:16
	s_wait_alu 0xfffe
	s_lshl_b32 s14, s1, 2
	v_cmp_gt_i32_e64 s1, s9, v13
	v_cmp_gt_i32_e64 s2, s9, v14
	s_and_b32 s3, s0, vcc_lo
	v_add_lshl_u32 v20, v12, v17, 2
	s_wait_alu 0xfffe
	v_cndmask_b32_e64 v12, 0x80000000, 0, s3
	s_and_b32 s3, s0, s1
	v_or_b32_e32 v15, 6, v17
	s_wait_alu 0xfffe
	v_cndmask_b32_e64 v13, 0x80000000, 0, s3
	s_and_b32 s3, s0, s2
	v_add_nc_u32_e32 v12, v12, v20
	s_wait_alu 0xfffe
	v_cndmask_b32_e64 v14, 0x80000000, 0, s3
	s_and_b32 s13, s13, 0xffff
	s_mov_b32 s15, 0x31004000
	v_cmp_gt_i32_e64 s3, s9, v15
	v_add_nc_u32_e32 v13, v20, v13
	v_add_nc_u32_e32 v14, v20, v14
	s_wait_dscnt 0x1
	buffer_store_b64 v[4:5], v12, s[12:15], null offen
	v_or_b32_e32 v4, 8, v17
	s_and_b32 s4, s0, s3
	buffer_store_b64 v[6:7], v13, s[12:15], null offen offset:8
	s_wait_dscnt 0x0
	buffer_store_b64 v[8:9], v14, s[12:15], null offen offset:16
	v_or_b32_e32 v9, 10, v17
	v_cndmask_b32_e64 v8, 0x80000000, 0, s4
	v_cmp_gt_i32_e64 s4, s9, v4
	ds_load_b128 v[4:7], v19 offset:32
	ds_load_b128 v[12:15], v19 offset:48
	v_or_b32_e32 v21, 12, v17
	v_or_b32_e32 v17, 14, v17
	v_cmp_gt_i32_e64 s5, s9, v9
	s_and_b32 s7, s0, s4
	v_add_nc_u32_e32 v8, v20, v8
	v_cmp_gt_i32_e64 s6, s9, v21
	v_cndmask_b32_e64 v9, 0x80000000, 0, s7
	v_cmp_gt_i32_e64 s7, s9, v17
	s_and_b32 s9, s0, s5
	s_wait_alu 0xfffe
	v_cndmask_b32_e64 v17, 0x80000000, 0, s9
	s_and_b32 s9, s0, s6
	s_and_b32 s0, s0, s7
	s_wait_alu 0xfffe
	v_cndmask_b32_e64 v21, 0x80000000, 0, s9
	v_cndmask_b32_e64 v22, 0x80000000, 0, s0
	v_add_nc_u32_e32 v9, v20, v9
	v_add_nc_u32_e32 v17, v20, v17
	s_delay_alu instid0(VALU_DEP_4) | instskip(NEXT) | instid1(VALU_DEP_4)
	v_add_nc_u32_e32 v21, v20, v21
	v_add_nc_u32_e32 v22, v20, v22
	buffer_store_b64 v[10:11], v8, s[12:15], null offen offset:24
	s_wait_dscnt 0x1
	s_clause 0x1
	buffer_store_b64 v[4:5], v9, s[12:15], null offen offset:32
	buffer_store_b64 v[6:7], v17, s[12:15], null offen offset:40
	s_wait_dscnt 0x0
	s_clause 0x1
	buffer_store_b64 v[12:13], v21, s[12:15], null offen offset:48
	buffer_store_b64 v[14:15], v22, s[12:15], null offen offset:56
	v_or_b32_e32 v4, 32, v16
	s_wait_dscnt 0x0
	s_barrier_signal -1
	s_barrier_wait -1
	ds_store_b128 v18, v[0:3]
	ds_store_b128 v18, v[0:3] offset:16
	ds_store_b128 v18, v[0:3] offset:144
	;; [unrolled: 1-line block ×3, first 2 shown]
	s_wait_dscnt 0x0
	s_barrier_signal -1
	s_barrier_wait -1
	ds_load_b128 v[0:3], v19
	v_cmp_gt_i32_e64 s0, s8, v4
	ds_load_b128 v[4:7], v19 offset:16
	v_lshl_add_u32 v12, s17, 7, v20
	s_and_b32 s8, vcc_lo, s0
	s_and_b32 s1, s0, s1
	s_wait_alu 0xfffe
	v_cndmask_b32_e64 v8, 0x80000000, 0, s8
	v_cndmask_b32_e64 v9, 0x80000000, 0, s1
	s_and_b32 s1, s0, s2
	s_wait_alu 0xfffe
	v_cndmask_b32_e64 v10, 0x80000000, 0, s1
	v_add_nc_u32_e32 v8, v8, v12
	v_add_nc_u32_e32 v13, v12, v9
	s_and_b32 s1, s0, s3
	s_delay_alu instid0(VALU_DEP_3)
	v_add_nc_u32_e32 v14, v12, v10
	s_wait_dscnt 0x1
	buffer_store_b64 v[0:1], v8, s[12:15], null offen
	ds_load_b128 v[8:11], v19 offset:32
	buffer_store_b64 v[2:3], v13, s[12:15], null offen offset:8
	ds_load_b128 v[0:3], v19 offset:48
	s_wait_dscnt 0x2
	buffer_store_b64 v[4:5], v14, s[12:15], null offen offset:16
	v_cndmask_b32_e64 v4, 0x80000000, 0, s1
	s_and_b32 s1, s0, s4
	s_wait_alu 0xfffe
	v_cndmask_b32_e64 v5, 0x80000000, 0, s1
	s_and_b32 s1, s0, s5
	v_add_nc_u32_e32 v4, v12, v4
	s_wait_alu 0xfffe
	v_cndmask_b32_e64 v13, 0x80000000, 0, s1
	s_and_b32 s1, s0, s6
	s_and_b32 s0, s0, s7
	s_wait_alu 0xfffe
	v_cndmask_b32_e64 v14, 0x80000000, 0, s1
	v_cndmask_b32_e64 v15, 0x80000000, 0, s0
	v_add_nc_u32_e32 v5, v12, v5
	v_add_nc_u32_e32 v13, v12, v13
	s_delay_alu instid0(VALU_DEP_4) | instskip(NEXT) | instid1(VALU_DEP_4)
	v_add_nc_u32_e32 v14, v12, v14
	v_add_nc_u32_e32 v12, v12, v15
	buffer_store_b64 v[6:7], v4, s[12:15], null offen offset:24
	s_wait_dscnt 0x1
	s_clause 0x1
	buffer_store_b64 v[8:9], v5, s[12:15], null offen offset:32
	buffer_store_b64 v[10:11], v13, s[12:15], null offen offset:40
	s_wait_dscnt 0x0
	s_clause 0x1
	buffer_store_b64 v[0:1], v14, s[12:15], null offen offset:48
	buffer_store_b64 v[2:3], v12, s[12:15], null offen offset:56
	s_nop 0
	s_sendmsg sendmsg(MSG_DEALLOC_VGPRS)
	s_endpgm
	.section	.rodata,"a",@progbits
	.p2align	6, 0x0
	.amdhsa_kernel _ZN2ck27kernel_gemm_xdl_cshuffle_v3INS_28GridwiseGemm_xdl_cshuffle_v3INS_13tensor_layout4gemm8RowMajorENS3_11ColumnMajorES4_fffffNS_16tensor_operation12element_wise11PassThroughES8_S8_LNS6_6device18GemmSpecializationE0ELi128ELi64ELi64ELi64ELi4ELi4ELi16ELi16ELi2ELi2ENS_8SequenceIJLi4ELi32ELi1EEEENSB_IJLi1ELi0ELi2EEEESD_Li2ELi2ELi2ELb0ELi0ESC_SD_SD_Li2ELi2ELi2ELb0ELi0ELi1ELi2ENSB_IJLi1ELi32ELi1ELi4EEEELi2ELNS_26BlockGemmPipelineSchedulerE0ELNS_24BlockGemmPipelineVersionE2EffLb0ELb0ELb0ELi0ELb0EEELb1ELNS_25InMemoryDataOperationEnumE0ELi2ELNS_10TailNumberE10EEEvNT_8ArgumentE
		.amdhsa_group_segment_fixed_size 32768
		.amdhsa_private_segment_fixed_size 0
		.amdhsa_kernarg_size 112
		.amdhsa_user_sgpr_count 2
		.amdhsa_user_sgpr_dispatch_ptr 0
		.amdhsa_user_sgpr_queue_ptr 0
		.amdhsa_user_sgpr_kernarg_segment_ptr 1
		.amdhsa_user_sgpr_dispatch_id 0
		.amdhsa_user_sgpr_private_segment_size 0
		.amdhsa_wavefront_size32 1
		.amdhsa_uses_dynamic_stack 0
		.amdhsa_enable_private_segment 0
		.amdhsa_system_sgpr_workgroup_id_x 1
		.amdhsa_system_sgpr_workgroup_id_y 0
		.amdhsa_system_sgpr_workgroup_id_z 1
		.amdhsa_system_sgpr_workgroup_info 0
		.amdhsa_system_vgpr_workitem_id 0
		.amdhsa_next_free_vgpr 241
		.amdhsa_next_free_sgpr 30
		.amdhsa_reserve_vcc 1
		.amdhsa_float_round_mode_32 0
		.amdhsa_float_round_mode_16_64 0
		.amdhsa_float_denorm_mode_32 3
		.amdhsa_float_denorm_mode_16_64 3
		.amdhsa_fp16_overflow 0
		.amdhsa_workgroup_processor_mode 1
		.amdhsa_memory_ordered 1
		.amdhsa_forward_progress 1
		.amdhsa_inst_pref_size 33
		.amdhsa_round_robin_scheduling 0
		.amdhsa_exception_fp_ieee_invalid_op 0
		.amdhsa_exception_fp_denorm_src 0
		.amdhsa_exception_fp_ieee_div_zero 0
		.amdhsa_exception_fp_ieee_overflow 0
		.amdhsa_exception_fp_ieee_underflow 0
		.amdhsa_exception_fp_ieee_inexact 0
		.amdhsa_exception_int_div_zero 0
	.end_amdhsa_kernel
	.section	.text._ZN2ck27kernel_gemm_xdl_cshuffle_v3INS_28GridwiseGemm_xdl_cshuffle_v3INS_13tensor_layout4gemm8RowMajorENS3_11ColumnMajorES4_fffffNS_16tensor_operation12element_wise11PassThroughES8_S8_LNS6_6device18GemmSpecializationE0ELi128ELi64ELi64ELi64ELi4ELi4ELi16ELi16ELi2ELi2ENS_8SequenceIJLi4ELi32ELi1EEEENSB_IJLi1ELi0ELi2EEEESD_Li2ELi2ELi2ELb0ELi0ESC_SD_SD_Li2ELi2ELi2ELb0ELi0ELi1ELi2ENSB_IJLi1ELi32ELi1ELi4EEEELi2ELNS_26BlockGemmPipelineSchedulerE0ELNS_24BlockGemmPipelineVersionE2EffLb0ELb0ELb0ELi0ELb0EEELb1ELNS_25InMemoryDataOperationEnumE0ELi2ELNS_10TailNumberE10EEEvNT_8ArgumentE,"axG",@progbits,_ZN2ck27kernel_gemm_xdl_cshuffle_v3INS_28GridwiseGemm_xdl_cshuffle_v3INS_13tensor_layout4gemm8RowMajorENS3_11ColumnMajorES4_fffffNS_16tensor_operation12element_wise11PassThroughES8_S8_LNS6_6device18GemmSpecializationE0ELi128ELi64ELi64ELi64ELi4ELi4ELi16ELi16ELi2ELi2ENS_8SequenceIJLi4ELi32ELi1EEEENSB_IJLi1ELi0ELi2EEEESD_Li2ELi2ELi2ELb0ELi0ESC_SD_SD_Li2ELi2ELi2ELb0ELi0ELi1ELi2ENSB_IJLi1ELi32ELi1ELi4EEEELi2ELNS_26BlockGemmPipelineSchedulerE0ELNS_24BlockGemmPipelineVersionE2EffLb0ELb0ELb0ELi0ELb0EEELb1ELNS_25InMemoryDataOperationEnumE0ELi2ELNS_10TailNumberE10EEEvNT_8ArgumentE,comdat
.Lfunc_end4:
	.size	_ZN2ck27kernel_gemm_xdl_cshuffle_v3INS_28GridwiseGemm_xdl_cshuffle_v3INS_13tensor_layout4gemm8RowMajorENS3_11ColumnMajorES4_fffffNS_16tensor_operation12element_wise11PassThroughES8_S8_LNS6_6device18GemmSpecializationE0ELi128ELi64ELi64ELi64ELi4ELi4ELi16ELi16ELi2ELi2ENS_8SequenceIJLi4ELi32ELi1EEEENSB_IJLi1ELi0ELi2EEEESD_Li2ELi2ELi2ELb0ELi0ESC_SD_SD_Li2ELi2ELi2ELb0ELi0ELi1ELi2ENSB_IJLi1ELi32ELi1ELi4EEEELi2ELNS_26BlockGemmPipelineSchedulerE0ELNS_24BlockGemmPipelineVersionE2EffLb0ELb0ELb0ELi0ELb0EEELb1ELNS_25InMemoryDataOperationEnumE0ELi2ELNS_10TailNumberE10EEEvNT_8ArgumentE, .Lfunc_end4-_ZN2ck27kernel_gemm_xdl_cshuffle_v3INS_28GridwiseGemm_xdl_cshuffle_v3INS_13tensor_layout4gemm8RowMajorENS3_11ColumnMajorES4_fffffNS_16tensor_operation12element_wise11PassThroughES8_S8_LNS6_6device18GemmSpecializationE0ELi128ELi64ELi64ELi64ELi4ELi4ELi16ELi16ELi2ELi2ENS_8SequenceIJLi4ELi32ELi1EEEENSB_IJLi1ELi0ELi2EEEESD_Li2ELi2ELi2ELb0ELi0ESC_SD_SD_Li2ELi2ELi2ELb0ELi0ELi1ELi2ENSB_IJLi1ELi32ELi1ELi4EEEELi2ELNS_26BlockGemmPipelineSchedulerE0ELNS_24BlockGemmPipelineVersionE2EffLb0ELb0ELb0ELi0ELb0EEELb1ELNS_25InMemoryDataOperationEnumE0ELi2ELNS_10TailNumberE10EEEvNT_8ArgumentE
                                        ; -- End function
	.set _ZN2ck27kernel_gemm_xdl_cshuffle_v3INS_28GridwiseGemm_xdl_cshuffle_v3INS_13tensor_layout4gemm8RowMajorENS3_11ColumnMajorES4_fffffNS_16tensor_operation12element_wise11PassThroughES8_S8_LNS6_6device18GemmSpecializationE0ELi128ELi64ELi64ELi64ELi4ELi4ELi16ELi16ELi2ELi2ENS_8SequenceIJLi4ELi32ELi1EEEENSB_IJLi1ELi0ELi2EEEESD_Li2ELi2ELi2ELb0ELi0ESC_SD_SD_Li2ELi2ELi2ELb0ELi0ELi1ELi2ENSB_IJLi1ELi32ELi1ELi4EEEELi2ELNS_26BlockGemmPipelineSchedulerE0ELNS_24BlockGemmPipelineVersionE2EffLb0ELb0ELb0ELi0ELb0EEELb1ELNS_25InMemoryDataOperationEnumE0ELi2ELNS_10TailNumberE10EEEvNT_8ArgumentE.num_vgpr, 153
	.set _ZN2ck27kernel_gemm_xdl_cshuffle_v3INS_28GridwiseGemm_xdl_cshuffle_v3INS_13tensor_layout4gemm8RowMajorENS3_11ColumnMajorES4_fffffNS_16tensor_operation12element_wise11PassThroughES8_S8_LNS6_6device18GemmSpecializationE0ELi128ELi64ELi64ELi64ELi4ELi4ELi16ELi16ELi2ELi2ENS_8SequenceIJLi4ELi32ELi1EEEENSB_IJLi1ELi0ELi2EEEESD_Li2ELi2ELi2ELb0ELi0ESC_SD_SD_Li2ELi2ELi2ELb0ELi0ELi1ELi2ENSB_IJLi1ELi32ELi1ELi4EEEELi2ELNS_26BlockGemmPipelineSchedulerE0ELNS_24BlockGemmPipelineVersionE2EffLb0ELb0ELb0ELi0ELb0EEELb1ELNS_25InMemoryDataOperationEnumE0ELi2ELNS_10TailNumberE10EEEvNT_8ArgumentE.num_agpr, 0
	.set _ZN2ck27kernel_gemm_xdl_cshuffle_v3INS_28GridwiseGemm_xdl_cshuffle_v3INS_13tensor_layout4gemm8RowMajorENS3_11ColumnMajorES4_fffffNS_16tensor_operation12element_wise11PassThroughES8_S8_LNS6_6device18GemmSpecializationE0ELi128ELi64ELi64ELi64ELi4ELi4ELi16ELi16ELi2ELi2ENS_8SequenceIJLi4ELi32ELi1EEEENSB_IJLi1ELi0ELi2EEEESD_Li2ELi2ELi2ELb0ELi0ESC_SD_SD_Li2ELi2ELi2ELb0ELi0ELi1ELi2ENSB_IJLi1ELi32ELi1ELi4EEEELi2ELNS_26BlockGemmPipelineSchedulerE0ELNS_24BlockGemmPipelineVersionE2EffLb0ELb0ELb0ELi0ELb0EEELb1ELNS_25InMemoryDataOperationEnumE0ELi2ELNS_10TailNumberE10EEEvNT_8ArgumentE.numbered_sgpr, 30
	.set _ZN2ck27kernel_gemm_xdl_cshuffle_v3INS_28GridwiseGemm_xdl_cshuffle_v3INS_13tensor_layout4gemm8RowMajorENS3_11ColumnMajorES4_fffffNS_16tensor_operation12element_wise11PassThroughES8_S8_LNS6_6device18GemmSpecializationE0ELi128ELi64ELi64ELi64ELi4ELi4ELi16ELi16ELi2ELi2ENS_8SequenceIJLi4ELi32ELi1EEEENSB_IJLi1ELi0ELi2EEEESD_Li2ELi2ELi2ELb0ELi0ESC_SD_SD_Li2ELi2ELi2ELb0ELi0ELi1ELi2ENSB_IJLi1ELi32ELi1ELi4EEEELi2ELNS_26BlockGemmPipelineSchedulerE0ELNS_24BlockGemmPipelineVersionE2EffLb0ELb0ELb0ELi0ELb0EEELb1ELNS_25InMemoryDataOperationEnumE0ELi2ELNS_10TailNumberE10EEEvNT_8ArgumentE.num_named_barrier, 0
	.set _ZN2ck27kernel_gemm_xdl_cshuffle_v3INS_28GridwiseGemm_xdl_cshuffle_v3INS_13tensor_layout4gemm8RowMajorENS3_11ColumnMajorES4_fffffNS_16tensor_operation12element_wise11PassThroughES8_S8_LNS6_6device18GemmSpecializationE0ELi128ELi64ELi64ELi64ELi4ELi4ELi16ELi16ELi2ELi2ENS_8SequenceIJLi4ELi32ELi1EEEENSB_IJLi1ELi0ELi2EEEESD_Li2ELi2ELi2ELb0ELi0ESC_SD_SD_Li2ELi2ELi2ELb0ELi0ELi1ELi2ENSB_IJLi1ELi32ELi1ELi4EEEELi2ELNS_26BlockGemmPipelineSchedulerE0ELNS_24BlockGemmPipelineVersionE2EffLb0ELb0ELb0ELi0ELb0EEELb1ELNS_25InMemoryDataOperationEnumE0ELi2ELNS_10TailNumberE10EEEvNT_8ArgumentE.private_seg_size, 0
	.set _ZN2ck27kernel_gemm_xdl_cshuffle_v3INS_28GridwiseGemm_xdl_cshuffle_v3INS_13tensor_layout4gemm8RowMajorENS3_11ColumnMajorES4_fffffNS_16tensor_operation12element_wise11PassThroughES8_S8_LNS6_6device18GemmSpecializationE0ELi128ELi64ELi64ELi64ELi4ELi4ELi16ELi16ELi2ELi2ENS_8SequenceIJLi4ELi32ELi1EEEENSB_IJLi1ELi0ELi2EEEESD_Li2ELi2ELi2ELb0ELi0ESC_SD_SD_Li2ELi2ELi2ELb0ELi0ELi1ELi2ENSB_IJLi1ELi32ELi1ELi4EEEELi2ELNS_26BlockGemmPipelineSchedulerE0ELNS_24BlockGemmPipelineVersionE2EffLb0ELb0ELb0ELi0ELb0EEELb1ELNS_25InMemoryDataOperationEnumE0ELi2ELNS_10TailNumberE10EEEvNT_8ArgumentE.uses_vcc, 1
	.set _ZN2ck27kernel_gemm_xdl_cshuffle_v3INS_28GridwiseGemm_xdl_cshuffle_v3INS_13tensor_layout4gemm8RowMajorENS3_11ColumnMajorES4_fffffNS_16tensor_operation12element_wise11PassThroughES8_S8_LNS6_6device18GemmSpecializationE0ELi128ELi64ELi64ELi64ELi4ELi4ELi16ELi16ELi2ELi2ENS_8SequenceIJLi4ELi32ELi1EEEENSB_IJLi1ELi0ELi2EEEESD_Li2ELi2ELi2ELb0ELi0ESC_SD_SD_Li2ELi2ELi2ELb0ELi0ELi1ELi2ENSB_IJLi1ELi32ELi1ELi4EEEELi2ELNS_26BlockGemmPipelineSchedulerE0ELNS_24BlockGemmPipelineVersionE2EffLb0ELb0ELb0ELi0ELb0EEELb1ELNS_25InMemoryDataOperationEnumE0ELi2ELNS_10TailNumberE10EEEvNT_8ArgumentE.uses_flat_scratch, 0
	.set _ZN2ck27kernel_gemm_xdl_cshuffle_v3INS_28GridwiseGemm_xdl_cshuffle_v3INS_13tensor_layout4gemm8RowMajorENS3_11ColumnMajorES4_fffffNS_16tensor_operation12element_wise11PassThroughES8_S8_LNS6_6device18GemmSpecializationE0ELi128ELi64ELi64ELi64ELi4ELi4ELi16ELi16ELi2ELi2ENS_8SequenceIJLi4ELi32ELi1EEEENSB_IJLi1ELi0ELi2EEEESD_Li2ELi2ELi2ELb0ELi0ESC_SD_SD_Li2ELi2ELi2ELb0ELi0ELi1ELi2ENSB_IJLi1ELi32ELi1ELi4EEEELi2ELNS_26BlockGemmPipelineSchedulerE0ELNS_24BlockGemmPipelineVersionE2EffLb0ELb0ELb0ELi0ELb0EEELb1ELNS_25InMemoryDataOperationEnumE0ELi2ELNS_10TailNumberE10EEEvNT_8ArgumentE.has_dyn_sized_stack, 0
	.set _ZN2ck27kernel_gemm_xdl_cshuffle_v3INS_28GridwiseGemm_xdl_cshuffle_v3INS_13tensor_layout4gemm8RowMajorENS3_11ColumnMajorES4_fffffNS_16tensor_operation12element_wise11PassThroughES8_S8_LNS6_6device18GemmSpecializationE0ELi128ELi64ELi64ELi64ELi4ELi4ELi16ELi16ELi2ELi2ENS_8SequenceIJLi4ELi32ELi1EEEENSB_IJLi1ELi0ELi2EEEESD_Li2ELi2ELi2ELb0ELi0ESC_SD_SD_Li2ELi2ELi2ELb0ELi0ELi1ELi2ENSB_IJLi1ELi32ELi1ELi4EEEELi2ELNS_26BlockGemmPipelineSchedulerE0ELNS_24BlockGemmPipelineVersionE2EffLb0ELb0ELb0ELi0ELb0EEELb1ELNS_25InMemoryDataOperationEnumE0ELi2ELNS_10TailNumberE10EEEvNT_8ArgumentE.has_recursion, 0
	.set _ZN2ck27kernel_gemm_xdl_cshuffle_v3INS_28GridwiseGemm_xdl_cshuffle_v3INS_13tensor_layout4gemm8RowMajorENS3_11ColumnMajorES4_fffffNS_16tensor_operation12element_wise11PassThroughES8_S8_LNS6_6device18GemmSpecializationE0ELi128ELi64ELi64ELi64ELi4ELi4ELi16ELi16ELi2ELi2ENS_8SequenceIJLi4ELi32ELi1EEEENSB_IJLi1ELi0ELi2EEEESD_Li2ELi2ELi2ELb0ELi0ESC_SD_SD_Li2ELi2ELi2ELb0ELi0ELi1ELi2ENSB_IJLi1ELi32ELi1ELi4EEEELi2ELNS_26BlockGemmPipelineSchedulerE0ELNS_24BlockGemmPipelineVersionE2EffLb0ELb0ELb0ELi0ELb0EEELb1ELNS_25InMemoryDataOperationEnumE0ELi2ELNS_10TailNumberE10EEEvNT_8ArgumentE.has_indirect_call, 0
	.section	.AMDGPU.csdata,"",@progbits
; Kernel info:
; codeLenInByte = 4176
; TotalNumSgprs: 32
; NumVgprs: 153
; ScratchSize: 0
; MemoryBound: 0
; FloatMode: 240
; IeeeMode: 1
; LDSByteSize: 32768 bytes/workgroup (compile time only)
; SGPRBlocks: 0
; VGPRBlocks: 30
; NumSGPRsForWavesPerEU: 32
; NumVGPRsForWavesPerEU: 241
; Occupancy: 4
; WaveLimiterHint : 0
; COMPUTE_PGM_RSRC2:SCRATCH_EN: 0
; COMPUTE_PGM_RSRC2:USER_SGPR: 2
; COMPUTE_PGM_RSRC2:TRAP_HANDLER: 0
; COMPUTE_PGM_RSRC2:TGID_X_EN: 1
; COMPUTE_PGM_RSRC2:TGID_Y_EN: 0
; COMPUTE_PGM_RSRC2:TGID_Z_EN: 1
; COMPUTE_PGM_RSRC2:TIDIG_COMP_CNT: 0
	.section	.AMDGPU.gpr_maximums,"",@progbits
	.set amdgpu.max_num_vgpr, 0
	.set amdgpu.max_num_agpr, 0
	.set amdgpu.max_num_sgpr, 0
	.section	.AMDGPU.csdata,"",@progbits
	.type	__hip_cuid_86c0e0fdd77057c,@object ; @__hip_cuid_86c0e0fdd77057c
	.section	.bss,"aw",@nobits
	.globl	__hip_cuid_86c0e0fdd77057c
__hip_cuid_86c0e0fdd77057c:
	.byte	0                               ; 0x0
	.size	__hip_cuid_86c0e0fdd77057c, 1

	.ident	"AMD clang version 22.0.0git (https://github.com/RadeonOpenCompute/llvm-project roc-7.2.4 26084 f58b06dce1f9c15707c5f808fd002e18c2accf7e)"
	.section	".note.GNU-stack","",@progbits
	.addrsig
	.addrsig_sym __hip_cuid_86c0e0fdd77057c
	.amdgpu_metadata
---
amdhsa.kernels:
  - .args:           []
    .group_segment_fixed_size: 0
    .kernarg_segment_align: 4
    .kernarg_segment_size: 0
    .language:       OpenCL C
    .language_version:
      - 2
      - 0
    .max_flat_workgroup_size: 1024
    .name:           _ZN2ckL12flush_icacheEv
    .private_segment_fixed_size: 0
    .sgpr_count:     0
    .sgpr_spill_count: 0
    .symbol:         _ZN2ckL12flush_icacheEv.kd
    .uniform_work_group_size: 1
    .uses_dynamic_stack: false
    .vgpr_count:     0
    .vgpr_spill_count: 0
    .wavefront_size: 32
    .workgroup_processor_mode: 1
  - .args:
      - .offset:         0
        .size:           112
        .value_kind:     by_value
    .group_segment_fixed_size: 0
    .kernarg_segment_align: 8
    .kernarg_segment_size: 112
    .language:       OpenCL C
    .language_version:
      - 2
      - 0
    .max_flat_workgroup_size: 128
    .name:           _ZN2ck27kernel_gemm_xdl_cshuffle_v3INS_28GridwiseGemm_xdl_cshuffle_v3INS_13tensor_layout4gemm8RowMajorENS3_11ColumnMajorES4_fffffNS_16tensor_operation12element_wise11PassThroughES8_S8_LNS6_6device18GemmSpecializationE0ELi128ELi64ELi64ELi64ELi4ELi4ELi16ELi16ELi2ELi4ENS_8SequenceIJLi4ELi32ELi1EEEENSB_IJLi1ELi0ELi2EEEESD_Li2ELi2ELi2ELb0ELi0ESC_SD_SD_Li2ELi2ELi2ELb0ELi0ELi1ELi2ENSB_IJLi1ELi32ELi1ELi4EEEELi2ELNS_26BlockGemmPipelineSchedulerE0ELNS_24BlockGemmPipelineVersionE2EffLb0ELb0ELb0ELi0ELb0EEELb1ELNS_25InMemoryDataOperationEnumE1ELi2ELNS_10TailNumberE10EEEvNT_8ArgumentE
    .private_segment_fixed_size: 0
    .sgpr_count:     0
    .sgpr_spill_count: 0
    .symbol:         _ZN2ck27kernel_gemm_xdl_cshuffle_v3INS_28GridwiseGemm_xdl_cshuffle_v3INS_13tensor_layout4gemm8RowMajorENS3_11ColumnMajorES4_fffffNS_16tensor_operation12element_wise11PassThroughES8_S8_LNS6_6device18GemmSpecializationE0ELi128ELi64ELi64ELi64ELi4ELi4ELi16ELi16ELi2ELi4ENS_8SequenceIJLi4ELi32ELi1EEEENSB_IJLi1ELi0ELi2EEEESD_Li2ELi2ELi2ELb0ELi0ESC_SD_SD_Li2ELi2ELi2ELb0ELi0ELi1ELi2ENSB_IJLi1ELi32ELi1ELi4EEEELi2ELNS_26BlockGemmPipelineSchedulerE0ELNS_24BlockGemmPipelineVersionE2EffLb0ELb0ELb0ELi0ELb0EEELb1ELNS_25InMemoryDataOperationEnumE1ELi2ELNS_10TailNumberE10EEEvNT_8ArgumentE.kd
    .uniform_work_group_size: 1
    .uses_dynamic_stack: false
    .vgpr_count:     0
    .vgpr_spill_count: 0
    .wavefront_size: 32
    .workgroup_processor_mode: 1
  - .args:
      - .offset:         0
        .size:           112
        .value_kind:     by_value
    .group_segment_fixed_size: 0
    .kernarg_segment_align: 8
    .kernarg_segment_size: 112
    .language:       OpenCL C
    .language_version:
      - 2
      - 0
    .max_flat_workgroup_size: 128
    .name:           _ZN2ck27kernel_gemm_xdl_cshuffle_v3INS_28GridwiseGemm_xdl_cshuffle_v3INS_13tensor_layout4gemm8RowMajorENS3_11ColumnMajorES4_fffffNS_16tensor_operation12element_wise11PassThroughES8_S8_LNS6_6device18GemmSpecializationE0ELi128ELi64ELi64ELi64ELi4ELi4ELi16ELi16ELi2ELi4ENS_8SequenceIJLi4ELi32ELi1EEEENSB_IJLi1ELi0ELi2EEEESD_Li2ELi2ELi2ELb0ELi0ESC_SD_SD_Li2ELi2ELi2ELb0ELi0ELi1ELi2ENSB_IJLi1ELi32ELi1ELi4EEEELi2ELNS_26BlockGemmPipelineSchedulerE0ELNS_24BlockGemmPipelineVersionE2EffLb0ELb0ELb0ELi0ELb0EEELb1ELNS_25InMemoryDataOperationEnumE0ELi2ELNS_10TailNumberE10EEEvNT_8ArgumentE
    .private_segment_fixed_size: 0
    .sgpr_count:     0
    .sgpr_spill_count: 0
    .symbol:         _ZN2ck27kernel_gemm_xdl_cshuffle_v3INS_28GridwiseGemm_xdl_cshuffle_v3INS_13tensor_layout4gemm8RowMajorENS3_11ColumnMajorES4_fffffNS_16tensor_operation12element_wise11PassThroughES8_S8_LNS6_6device18GemmSpecializationE0ELi128ELi64ELi64ELi64ELi4ELi4ELi16ELi16ELi2ELi4ENS_8SequenceIJLi4ELi32ELi1EEEENSB_IJLi1ELi0ELi2EEEESD_Li2ELi2ELi2ELb0ELi0ESC_SD_SD_Li2ELi2ELi2ELb0ELi0ELi1ELi2ENSB_IJLi1ELi32ELi1ELi4EEEELi2ELNS_26BlockGemmPipelineSchedulerE0ELNS_24BlockGemmPipelineVersionE2EffLb0ELb0ELb0ELi0ELb0EEELb1ELNS_25InMemoryDataOperationEnumE0ELi2ELNS_10TailNumberE10EEEvNT_8ArgumentE.kd
    .uniform_work_group_size: 1
    .uses_dynamic_stack: false
    .vgpr_count:     0
    .vgpr_spill_count: 0
    .wavefront_size: 32
    .workgroup_processor_mode: 1
  - .args:
      - .offset:         0
        .size:           112
        .value_kind:     by_value
    .group_segment_fixed_size: 32768
    .kernarg_segment_align: 8
    .kernarg_segment_size: 112
    .language:       OpenCL C
    .language_version:
      - 2
      - 0
    .max_flat_workgroup_size: 128
    .name:           _ZN2ck27kernel_gemm_xdl_cshuffle_v3INS_28GridwiseGemm_xdl_cshuffle_v3INS_13tensor_layout4gemm8RowMajorENS3_11ColumnMajorES4_fffffNS_16tensor_operation12element_wise11PassThroughES8_S8_LNS6_6device18GemmSpecializationE0ELi128ELi64ELi64ELi64ELi4ELi4ELi16ELi16ELi2ELi2ENS_8SequenceIJLi4ELi32ELi1EEEENSB_IJLi1ELi0ELi2EEEESD_Li2ELi2ELi2ELb0ELi0ESC_SD_SD_Li2ELi2ELi2ELb0ELi0ELi1ELi2ENSB_IJLi1ELi32ELi1ELi4EEEELi2ELNS_26BlockGemmPipelineSchedulerE0ELNS_24BlockGemmPipelineVersionE2EffLb0ELb0ELb0ELi0ELb0EEELb1ELNS_25InMemoryDataOperationEnumE1ELi2ELNS_10TailNumberE10EEEvNT_8ArgumentE
    .private_segment_fixed_size: 0
    .sgpr_count:     32
    .sgpr_spill_count: 0
    .symbol:         _ZN2ck27kernel_gemm_xdl_cshuffle_v3INS_28GridwiseGemm_xdl_cshuffle_v3INS_13tensor_layout4gemm8RowMajorENS3_11ColumnMajorES4_fffffNS_16tensor_operation12element_wise11PassThroughES8_S8_LNS6_6device18GemmSpecializationE0ELi128ELi64ELi64ELi64ELi4ELi4ELi16ELi16ELi2ELi2ENS_8SequenceIJLi4ELi32ELi1EEEENSB_IJLi1ELi0ELi2EEEESD_Li2ELi2ELi2ELb0ELi0ESC_SD_SD_Li2ELi2ELi2ELb0ELi0ELi1ELi2ENSB_IJLi1ELi32ELi1ELi4EEEELi2ELNS_26BlockGemmPipelineSchedulerE0ELNS_24BlockGemmPipelineVersionE2EffLb0ELb0ELb0ELi0ELb0EEELb1ELNS_25InMemoryDataOperationEnumE1ELi2ELNS_10TailNumberE10EEEvNT_8ArgumentE.kd
    .uniform_work_group_size: 1
    .uses_dynamic_stack: false
    .vgpr_count:     153
    .vgpr_spill_count: 0
    .wavefront_size: 32
    .workgroup_processor_mode: 1
  - .args:
      - .offset:         0
        .size:           112
        .value_kind:     by_value
    .group_segment_fixed_size: 32768
    .kernarg_segment_align: 8
    .kernarg_segment_size: 112
    .language:       OpenCL C
    .language_version:
      - 2
      - 0
    .max_flat_workgroup_size: 128
    .name:           _ZN2ck27kernel_gemm_xdl_cshuffle_v3INS_28GridwiseGemm_xdl_cshuffle_v3INS_13tensor_layout4gemm8RowMajorENS3_11ColumnMajorES4_fffffNS_16tensor_operation12element_wise11PassThroughES8_S8_LNS6_6device18GemmSpecializationE0ELi128ELi64ELi64ELi64ELi4ELi4ELi16ELi16ELi2ELi2ENS_8SequenceIJLi4ELi32ELi1EEEENSB_IJLi1ELi0ELi2EEEESD_Li2ELi2ELi2ELb0ELi0ESC_SD_SD_Li2ELi2ELi2ELb0ELi0ELi1ELi2ENSB_IJLi1ELi32ELi1ELi4EEEELi2ELNS_26BlockGemmPipelineSchedulerE0ELNS_24BlockGemmPipelineVersionE2EffLb0ELb0ELb0ELi0ELb0EEELb1ELNS_25InMemoryDataOperationEnumE0ELi2ELNS_10TailNumberE10EEEvNT_8ArgumentE
    .private_segment_fixed_size: 0
    .sgpr_count:     32
    .sgpr_spill_count: 0
    .symbol:         _ZN2ck27kernel_gemm_xdl_cshuffle_v3INS_28GridwiseGemm_xdl_cshuffle_v3INS_13tensor_layout4gemm8RowMajorENS3_11ColumnMajorES4_fffffNS_16tensor_operation12element_wise11PassThroughES8_S8_LNS6_6device18GemmSpecializationE0ELi128ELi64ELi64ELi64ELi4ELi4ELi16ELi16ELi2ELi2ENS_8SequenceIJLi4ELi32ELi1EEEENSB_IJLi1ELi0ELi2EEEESD_Li2ELi2ELi2ELb0ELi0ESC_SD_SD_Li2ELi2ELi2ELb0ELi0ELi1ELi2ENSB_IJLi1ELi32ELi1ELi4EEEELi2ELNS_26BlockGemmPipelineSchedulerE0ELNS_24BlockGemmPipelineVersionE2EffLb0ELb0ELb0ELi0ELb0EEELb1ELNS_25InMemoryDataOperationEnumE0ELi2ELNS_10TailNumberE10EEEvNT_8ArgumentE.kd
    .uniform_work_group_size: 1
    .uses_dynamic_stack: false
    .vgpr_count:     153
    .vgpr_spill_count: 0
    .wavefront_size: 32
    .workgroup_processor_mode: 1
amdhsa.target:   amdgcn-amd-amdhsa--gfx1201
amdhsa.version:
  - 1
  - 2
...

	.end_amdgpu_metadata
